;; amdgpu-corpus repo=ROCm/rocFFT kind=compiled arch=gfx1030 opt=O3
	.text
	.amdgcn_target "amdgcn-amd-amdhsa--gfx1030"
	.amdhsa_code_object_version 6
	.protected	fft_rtc_back_len1404_factors_2_2_3_13_3_3_wgs_117_tpt_117_halfLds_dp_ip_CI_sbrr_dirReg ; -- Begin function fft_rtc_back_len1404_factors_2_2_3_13_3_3_wgs_117_tpt_117_halfLds_dp_ip_CI_sbrr_dirReg
	.globl	fft_rtc_back_len1404_factors_2_2_3_13_3_3_wgs_117_tpt_117_halfLds_dp_ip_CI_sbrr_dirReg
	.p2align	8
	.type	fft_rtc_back_len1404_factors_2_2_3_13_3_3_wgs_117_tpt_117_halfLds_dp_ip_CI_sbrr_dirReg,@function
fft_rtc_back_len1404_factors_2_2_3_13_3_3_wgs_117_tpt_117_halfLds_dp_ip_CI_sbrr_dirReg: ; @fft_rtc_back_len1404_factors_2_2_3_13_3_3_wgs_117_tpt_117_halfLds_dp_ip_CI_sbrr_dirReg
; %bb.0:
	s_clause 0x2
	s_load_dwordx2 s[14:15], s[4:5], 0x18
	s_load_dwordx4 s[8:11], s[4:5], 0x0
	s_load_dwordx2 s[12:13], s[4:5], 0x50
	v_mul_u32_u24_e32 v1, 0x231, v0
	v_mov_b32_e32 v3, 0
	v_add_nc_u32_sdwa v5, s6, v1 dst_sel:DWORD dst_unused:UNUSED_PAD src0_sel:DWORD src1_sel:WORD_1
	v_mov_b32_e32 v1, 0
	v_mov_b32_e32 v6, v3
	v_mov_b32_e32 v2, 0
	s_waitcnt lgkmcnt(0)
	s_load_dwordx2 s[2:3], s[14:15], 0x0
	v_cmp_lt_u64_e64 s0, s[10:11], 2
	s_and_b32 vcc_lo, exec_lo, s0
	s_cbranch_vccnz .LBB0_8
; %bb.1:
	s_load_dwordx2 s[0:1], s[4:5], 0x10
	v_mov_b32_e32 v1, 0
	s_add_u32 s6, s14, 8
	v_mov_b32_e32 v2, 0
	s_addc_u32 s7, s15, 0
	s_mov_b64 s[18:19], 1
	s_waitcnt lgkmcnt(0)
	s_add_u32 s16, s0, 8
	s_addc_u32 s17, s1, 0
.LBB0_2:                                ; =>This Inner Loop Header: Depth=1
	s_load_dwordx2 s[20:21], s[16:17], 0x0
                                        ; implicit-def: $vgpr7_vgpr8
	s_mov_b32 s0, exec_lo
	s_waitcnt lgkmcnt(0)
	v_or_b32_e32 v4, s21, v6
	v_cmpx_ne_u64_e32 0, v[3:4]
	s_xor_b32 s1, exec_lo, s0
	s_cbranch_execz .LBB0_4
; %bb.3:                                ;   in Loop: Header=BB0_2 Depth=1
	v_cvt_f32_u32_e32 v4, s20
	v_cvt_f32_u32_e32 v7, s21
	s_sub_u32 s0, 0, s20
	s_subb_u32 s22, 0, s21
	v_fmac_f32_e32 v4, 0x4f800000, v7
	v_rcp_f32_e32 v4, v4
	v_mul_f32_e32 v4, 0x5f7ffffc, v4
	v_mul_f32_e32 v7, 0x2f800000, v4
	v_trunc_f32_e32 v7, v7
	v_fmac_f32_e32 v4, 0xcf800000, v7
	v_cvt_u32_f32_e32 v7, v7
	v_cvt_u32_f32_e32 v4, v4
	v_mul_lo_u32 v8, s0, v7
	v_mul_hi_u32 v9, s0, v4
	v_mul_lo_u32 v10, s22, v4
	v_add_nc_u32_e32 v8, v9, v8
	v_mul_lo_u32 v9, s0, v4
	v_add_nc_u32_e32 v8, v8, v10
	v_mul_hi_u32 v10, v4, v9
	v_mul_lo_u32 v11, v4, v8
	v_mul_hi_u32 v12, v4, v8
	v_mul_hi_u32 v13, v7, v9
	v_mul_lo_u32 v9, v7, v9
	v_mul_hi_u32 v14, v7, v8
	v_mul_lo_u32 v8, v7, v8
	v_add_co_u32 v10, vcc_lo, v10, v11
	v_add_co_ci_u32_e32 v11, vcc_lo, 0, v12, vcc_lo
	v_add_co_u32 v9, vcc_lo, v10, v9
	v_add_co_ci_u32_e32 v9, vcc_lo, v11, v13, vcc_lo
	v_add_co_ci_u32_e32 v10, vcc_lo, 0, v14, vcc_lo
	v_add_co_u32 v8, vcc_lo, v9, v8
	v_add_co_ci_u32_e32 v9, vcc_lo, 0, v10, vcc_lo
	v_add_co_u32 v4, vcc_lo, v4, v8
	v_add_co_ci_u32_e32 v7, vcc_lo, v7, v9, vcc_lo
	v_mul_hi_u32 v8, s0, v4
	v_mul_lo_u32 v10, s22, v4
	v_mul_lo_u32 v9, s0, v7
	v_add_nc_u32_e32 v8, v8, v9
	v_mul_lo_u32 v9, s0, v4
	v_add_nc_u32_e32 v8, v8, v10
	v_mul_hi_u32 v10, v4, v9
	v_mul_lo_u32 v11, v4, v8
	v_mul_hi_u32 v12, v4, v8
	v_mul_hi_u32 v13, v7, v9
	v_mul_lo_u32 v9, v7, v9
	v_mul_hi_u32 v14, v7, v8
	v_mul_lo_u32 v8, v7, v8
	v_add_co_u32 v10, vcc_lo, v10, v11
	v_add_co_ci_u32_e32 v11, vcc_lo, 0, v12, vcc_lo
	v_add_co_u32 v9, vcc_lo, v10, v9
	v_add_co_ci_u32_e32 v9, vcc_lo, v11, v13, vcc_lo
	v_add_co_ci_u32_e32 v10, vcc_lo, 0, v14, vcc_lo
	v_add_co_u32 v8, vcc_lo, v9, v8
	v_add_co_ci_u32_e32 v9, vcc_lo, 0, v10, vcc_lo
	v_add_co_u32 v4, vcc_lo, v4, v8
	v_add_co_ci_u32_e32 v11, vcc_lo, v7, v9, vcc_lo
	v_mul_hi_u32 v13, v5, v4
	v_mad_u64_u32 v[9:10], null, v6, v4, 0
	v_mad_u64_u32 v[7:8], null, v5, v11, 0
	;; [unrolled: 1-line block ×3, first 2 shown]
	v_add_co_u32 v4, vcc_lo, v13, v7
	v_add_co_ci_u32_e32 v7, vcc_lo, 0, v8, vcc_lo
	v_add_co_u32 v4, vcc_lo, v4, v9
	v_add_co_ci_u32_e32 v4, vcc_lo, v7, v10, vcc_lo
	v_add_co_ci_u32_e32 v7, vcc_lo, 0, v12, vcc_lo
	v_add_co_u32 v4, vcc_lo, v4, v11
	v_add_co_ci_u32_e32 v9, vcc_lo, 0, v7, vcc_lo
	v_mul_lo_u32 v10, s21, v4
	v_mad_u64_u32 v[7:8], null, s20, v4, 0
	v_mul_lo_u32 v11, s20, v9
	v_sub_co_u32 v7, vcc_lo, v5, v7
	v_add3_u32 v8, v8, v11, v10
	v_sub_nc_u32_e32 v10, v6, v8
	v_subrev_co_ci_u32_e64 v10, s0, s21, v10, vcc_lo
	v_add_co_u32 v11, s0, v4, 2
	v_add_co_ci_u32_e64 v12, s0, 0, v9, s0
	v_sub_co_u32 v13, s0, v7, s20
	v_sub_co_ci_u32_e32 v8, vcc_lo, v6, v8, vcc_lo
	v_subrev_co_ci_u32_e64 v10, s0, 0, v10, s0
	v_cmp_le_u32_e32 vcc_lo, s20, v13
	v_cmp_eq_u32_e64 s0, s21, v8
	v_cndmask_b32_e64 v13, 0, -1, vcc_lo
	v_cmp_le_u32_e32 vcc_lo, s21, v10
	v_cndmask_b32_e64 v14, 0, -1, vcc_lo
	v_cmp_le_u32_e32 vcc_lo, s20, v7
	;; [unrolled: 2-line block ×3, first 2 shown]
	v_cndmask_b32_e64 v15, 0, -1, vcc_lo
	v_cmp_eq_u32_e32 vcc_lo, s21, v10
	v_cndmask_b32_e64 v7, v15, v7, s0
	v_cndmask_b32_e32 v10, v14, v13, vcc_lo
	v_add_co_u32 v13, vcc_lo, v4, 1
	v_add_co_ci_u32_e32 v14, vcc_lo, 0, v9, vcc_lo
	v_cmp_ne_u32_e32 vcc_lo, 0, v10
	v_cndmask_b32_e32 v8, v14, v12, vcc_lo
	v_cndmask_b32_e32 v10, v13, v11, vcc_lo
	v_cmp_ne_u32_e32 vcc_lo, 0, v7
	v_cndmask_b32_e32 v8, v9, v8, vcc_lo
	v_cndmask_b32_e32 v7, v4, v10, vcc_lo
.LBB0_4:                                ;   in Loop: Header=BB0_2 Depth=1
	s_andn2_saveexec_b32 s0, s1
	s_cbranch_execz .LBB0_6
; %bb.5:                                ;   in Loop: Header=BB0_2 Depth=1
	v_cvt_f32_u32_e32 v4, s20
	s_sub_i32 s1, 0, s20
	v_rcp_iflag_f32_e32 v4, v4
	v_mul_f32_e32 v4, 0x4f7ffffe, v4
	v_cvt_u32_f32_e32 v4, v4
	v_mul_lo_u32 v7, s1, v4
	v_mul_hi_u32 v7, v4, v7
	v_add_nc_u32_e32 v4, v4, v7
	v_mul_hi_u32 v4, v5, v4
	v_mul_lo_u32 v7, v4, s20
	v_add_nc_u32_e32 v8, 1, v4
	v_sub_nc_u32_e32 v7, v5, v7
	v_subrev_nc_u32_e32 v9, s20, v7
	v_cmp_le_u32_e32 vcc_lo, s20, v7
	v_cndmask_b32_e32 v7, v7, v9, vcc_lo
	v_cndmask_b32_e32 v4, v4, v8, vcc_lo
	v_cmp_le_u32_e32 vcc_lo, s20, v7
	v_add_nc_u32_e32 v8, 1, v4
	v_cndmask_b32_e32 v7, v4, v8, vcc_lo
	v_mov_b32_e32 v8, v3
.LBB0_6:                                ;   in Loop: Header=BB0_2 Depth=1
	s_or_b32 exec_lo, exec_lo, s0
	s_load_dwordx2 s[0:1], s[6:7], 0x0
	v_mul_lo_u32 v4, v8, s20
	v_mul_lo_u32 v11, v7, s21
	v_mad_u64_u32 v[9:10], null, v7, s20, 0
	s_add_u32 s18, s18, 1
	s_addc_u32 s19, s19, 0
	s_add_u32 s6, s6, 8
	s_addc_u32 s7, s7, 0
	;; [unrolled: 2-line block ×3, first 2 shown]
	v_add3_u32 v4, v10, v11, v4
	v_sub_co_u32 v5, vcc_lo, v5, v9
	v_sub_co_ci_u32_e32 v4, vcc_lo, v6, v4, vcc_lo
	s_waitcnt lgkmcnt(0)
	v_mul_lo_u32 v6, s1, v5
	v_mul_lo_u32 v4, s0, v4
	v_mad_u64_u32 v[1:2], null, s0, v5, v[1:2]
	v_cmp_ge_u64_e64 s0, s[18:19], s[10:11]
	s_and_b32 vcc_lo, exec_lo, s0
	v_add3_u32 v2, v6, v2, v4
	s_cbranch_vccnz .LBB0_9
; %bb.7:                                ;   in Loop: Header=BB0_2 Depth=1
	v_mov_b32_e32 v5, v7
	v_mov_b32_e32 v6, v8
	s_branch .LBB0_2
.LBB0_8:
	v_mov_b32_e32 v8, v6
	v_mov_b32_e32 v7, v5
.LBB0_9:
	s_lshl_b64 s[0:1], s[10:11], 3
	v_mul_hi_u32 v3, 0x2302303, v0
	s_add_u32 s0, s14, s0
	s_addc_u32 s1, s15, s1
	s_load_dwordx2 s[4:5], s[4:5], 0x20
	s_load_dwordx2 s[0:1], s[0:1], 0x0
                                        ; implicit-def: $vgpr92
                                        ; implicit-def: $vgpr91
                                        ; implicit-def: $vgpr90
                                        ; implicit-def: $vgpr54
                                        ; implicit-def: $vgpr55
	v_mul_u32_u24_e32 v3, 0x75, v3
	v_sub_nc_u32_e32 v83, v0, v3
	v_add_nc_u32_e32 v84, 0x75, v83
	v_add_nc_u32_e32 v81, 0xea, v83
	;; [unrolled: 1-line block ×5, first 2 shown]
	s_waitcnt lgkmcnt(0)
	v_cmp_gt_u64_e32 vcc_lo, s[4:5], v[7:8]
	v_mul_lo_u32 v3, s0, v8
	v_mul_lo_u32 v4, s1, v7
	v_mad_u64_u32 v[0:1], null, s0, v7, v[1:2]
	v_cmp_le_u64_e64 s0, s[4:5], v[7:8]
	v_add3_u32 v1, v4, v1, v3
	s_and_saveexec_b32 s1, s0
	s_xor_b32 s0, exec_lo, s1
; %bb.10:
	v_add_nc_u32_e32 v92, 0x75, v83
	v_add_nc_u32_e32 v91, 0xea, v83
	;; [unrolled: 1-line block ×5, first 2 shown]
; %bb.11:
	s_or_saveexec_b32 s1, s0
	v_lshlrev_b64 v[48:49], 4, v[0:1]
	v_add_nc_u32_e32 v88, 0x3a8, v83
	v_add_nc_u32_e32 v87, 0x41d, v83
                                        ; implicit-def: $vgpr46_vgpr47
                                        ; implicit-def: $vgpr34_vgpr35
                                        ; implicit-def: $vgpr38_vgpr39
                                        ; implicit-def: $vgpr22_vgpr23
                                        ; implicit-def: $vgpr42_vgpr43
                                        ; implicit-def: $vgpr30_vgpr31
                                        ; implicit-def: $vgpr26_vgpr27
                                        ; implicit-def: $vgpr10_vgpr11
                                        ; implicit-def: $vgpr14_vgpr15
                                        ; implicit-def: $vgpr2_vgpr3
                                        ; implicit-def: $vgpr18_vgpr19
                                        ; implicit-def: $vgpr6_vgpr7
	s_xor_b32 exec_lo, exec_lo, s1
	s_cbranch_execz .LBB0_13
; %bb.12:
	v_add_nc_u32_e32 v9, 0x2be, v83
	v_mad_u64_u32 v[0:1], null, s2, v83, 0
	v_add_nc_u32_e32 v12, 0x333, v83
	v_mad_u64_u32 v[4:5], null, s2, v84, 0
	v_mad_u64_u32 v[2:3], null, s2, v9, 0
	v_add_co_u32 v42, s0, s12, v48
	v_add_co_ci_u32_e64 v43, s0, s13, v49, s0
	v_mad_u64_u32 v[20:21], null, s2, v88, 0
	v_mad_u64_u32 v[6:7], null, s3, v83, v[1:2]
	;; [unrolled: 1-line block ×3, first 2 shown]
	v_mov_b32_e32 v1, v3
	v_mov_b32_e32 v3, v5
	v_mad_u64_u32 v[28:29], null, s2, v87, 0
	v_mad_u64_u32 v[30:31], null, s2, v86, 0
	;; [unrolled: 1-line block ×3, first 2 shown]
	v_mov_b32_e32 v5, v8
	v_mad_u64_u32 v[10:11], null, s3, v84, v[3:4]
	v_mov_b32_e32 v1, v6
	v_add_nc_u32_e32 v37, 0x492, v83
	v_mad_u64_u32 v[11:12], null, s3, v12, v[5:6]
	v_mov_b32_e32 v3, v9
	v_lshlrev_b64 v[0:1], 4, v[0:1]
	v_mov_b32_e32 v5, v10
	v_mad_u64_u32 v[9:10], null, s2, v81, 0
	v_lshlrev_b64 v[2:3], 4, v[2:3]
	v_mov_b32_e32 v8, v11
	v_add_co_u32 v0, s0, v42, v0
	v_lshlrev_b64 v[4:5], 4, v[4:5]
	v_add_co_ci_u32_e64 v1, s0, v43, v1, s0
	v_add_co_u32 v2, s0, v42, v2
	v_lshlrev_b64 v[6:7], 4, v[7:8]
	v_mov_b32_e32 v8, v10
	v_add_co_ci_u32_e64 v3, s0, v43, v3, s0
	v_add_co_u32 v11, s0, v42, v4
	v_add_co_ci_u32_e64 v12, s0, v43, v5, s0
	v_mad_u64_u32 v[4:5], null, s3, v81, v[8:9]
	v_mov_b32_e32 v5, v21
	v_add_co_u32 v13, s0, v42, v6
	v_add_co_ci_u32_e64 v14, s0, v43, v7, s0
	v_mad_u64_u32 v[21:22], null, s3, v88, v[5:6]
	v_mov_b32_e32 v10, v4
	s_clause 0x3
	global_load_dwordx4 v[4:7], v[0:1], off
	global_load_dwordx4 v[16:19], v[2:3], off
	;; [unrolled: 1-line block ×4, first 2 shown]
	v_mad_u64_u32 v[22:23], null, s2, v82, 0
	v_mad_u64_u32 v[35:36], null, s2, v85, 0
	v_lshlrev_b64 v[8:9], 4, v[9:10]
	v_lshlrev_b64 v[20:21], 4, v[20:21]
	v_mov_b32_e32 v55, v85
	v_mov_b32_e32 v54, v86
	;; [unrolled: 1-line block ×4, first 2 shown]
	v_add_co_u32 v8, s0, v42, v8
	v_add_co_ci_u32_e64 v9, s0, v43, v9, s0
	v_mad_u64_u32 v[10:11], null, s3, v82, v[10:11]
	v_add_co_u32 v20, s0, v42, v20
	v_mov_b32_e32 v11, v29
	v_add_co_ci_u32_e64 v21, s0, v43, v21, s0
	v_mov_b32_e32 v29, v31
	v_mov_b32_e32 v23, v10
	v_mov_b32_e32 v91, v81
	v_mov_b32_e32 v92, v84
	s_waitcnt vmcnt(0)
	v_mad_u64_u32 v[32:33], null, s3, v87, v[11:12]
	s_clause 0x1
	global_load_dwordx4 v[8:11], v[8:9], off
	global_load_dwordx4 v[24:27], v[20:21], off
	v_mad_u64_u32 v[33:34], null, s2, v37, 0
	v_lshlrev_b64 v[20:21], 4, v[22:23]
	v_mad_u64_u32 v[22:23], null, s3, v86, v[29:30]
	v_mov_b32_e32 v29, v32
	v_add_nc_u32_e32 v32, 0x507, v83
	v_mov_b32_e32 v23, v34
	v_add_co_u32 v20, s0, v42, v20
	v_lshlrev_b64 v[28:29], 4, v[28:29]
	v_mov_b32_e32 v31, v22
	v_add_co_ci_u32_e64 v21, s0, v43, v21, s0
	v_add_co_u32 v40, s0, v42, v28
	v_add_co_ci_u32_e64 v41, s0, v43, v29, s0
	v_lshlrev_b64 v[28:29], 4, v[30:31]
	s_waitcnt vmcnt(0)
	v_mad_u64_u32 v[37:38], null, s3, v37, v[23:24]
	v_mad_u64_u32 v[38:39], null, s2, v32, 0
	v_mov_b32_e32 v23, v36
	v_mov_b32_e32 v34, v37
	v_mad_u64_u32 v[36:37], null, s3, v85, v[23:24]
	v_mov_b32_e32 v22, v39
	v_lshlrev_b64 v[30:31], 4, v[33:34]
	v_mad_u64_u32 v[22:23], null, s3, v32, v[22:23]
	v_add_co_u32 v32, s0, v42, v28
	v_add_co_ci_u32_e64 v33, s0, v43, v29, s0
	v_lshlrev_b64 v[28:29], 4, v[35:36]
	v_add_co_u32 v34, s0, v42, v30
	v_mov_b32_e32 v39, v22
	v_add_co_ci_u32_e64 v35, s0, v43, v31, s0
	v_add_co_u32 v44, s0, v42, v28
	v_lshlrev_b64 v[22:23], 4, v[38:39]
	v_add_co_ci_u32_e64 v45, s0, v43, v29, s0
	v_add_co_u32 v46, s0, v42, v22
	v_add_co_ci_u32_e64 v47, s0, v43, v23, s0
	s_clause 0x5
	global_load_dwordx4 v[28:31], v[20:21], off
	global_load_dwordx4 v[40:43], v[40:41], off
	;; [unrolled: 1-line block ×6, first 2 shown]
.LBB0_13:
	s_or_b32 exec_lo, exec_lo, s1
	v_add_f64 v[16:17], v[4:5], -v[16:17]
	v_add_f64 v[58:59], v[0:1], -v[12:13]
	;; [unrolled: 1-line block ×3, first 2 shown]
	s_waitcnt vmcnt(4)
	v_add_f64 v[40:41], v[28:29], -v[40:41]
	s_waitcnt vmcnt(2)
	v_add_f64 v[66:67], v[20:21], -v[36:37]
	;; [unrolled: 2-line block ×3, first 2 shown]
	v_add_f64 v[72:73], v[6:7], -v[18:19]
	v_add_f64 v[76:77], v[2:3], -v[14:15]
	;; [unrolled: 1-line block ×6, first 2 shown]
	v_lshl_add_u32 v50, v83, 4, 0
	v_lshlrev_b32_e32 v18, 3, v83
	v_lshl_add_u32 v94, v92, 4, 0
	v_lshlrev_b32_e32 v98, 3, v92
	v_lshl_add_u32 v93, v91, 4, 0
	v_lshlrev_b32_e32 v99, 3, v91
	v_sub_nc_u32_e32 v89, v50, v18
	v_lshl_add_u32 v51, v90, 4, 0
	v_lshlrev_b32_e32 v100, 3, v90
	v_lshl_add_u32 v95, v54, 4, 0
	v_fma_f64 v[14:15], v[4:5], 2.0, -v[16:17]
	v_fma_f64 v[56:57], v[0:1], 2.0, -v[58:59]
	v_fma_f64 v[60:61], v[8:9], 2.0, -v[62:63]
	v_fma_f64 v[38:39], v[28:29], 2.0, -v[40:41]
	v_fma_f64 v[64:65], v[20:21], 2.0, -v[66:67]
	v_fma_f64 v[42:43], v[32:33], 2.0, -v[44:45]
	v_fma_f64 v[70:71], v[6:7], 2.0, -v[72:73]
	v_fma_f64 v[74:75], v[2:3], 2.0, -v[76:77]
	v_fma_f64 v[10:11], v[10:11], 2.0, -v[12:13]
	v_fma_f64 v[24:25], v[30:31], 2.0, -v[26:27]
	v_fma_f64 v[102:103], v[22:23], 2.0, -v[104:105]
	v_fma_f64 v[34:35], v[34:35], 2.0, -v[36:37]
	v_lshl_add_u32 v8, v55, 4, 0
	v_lshlrev_b32_e32 v7, 3, v55
	v_and_b32_e32 v80, 1, v83
	v_add_nc_u32_e32 v52, 0x1400, v89
	v_lshlrev_b32_e32 v101, 3, v54
	v_and_b32_e32 v106, 1, v92
	v_sub_nc_u32_e32 v2, v94, v98
	v_and_b32_e32 v107, 1, v90
	v_sub_nc_u32_e32 v69, v93, v99
	v_and_b32_e32 v108, 1, v55
	ds_write_b128 v50, v[14:17]
	ds_write_b128 v94, v[56:59]
	;; [unrolled: 1-line block ×6, first 2 shown]
	v_add_nc_u32_e32 v38, 0x1c00, v89
	v_sub_nc_u32_e32 v0, v51, v100
	v_add_nc_u32_e32 v42, 0x2400, v89
	v_sub_nc_u32_e32 v68, v8, v7
	v_lshlrev_b32_e32 v7, 4, v80
	s_waitcnt lgkmcnt(0)
	s_barrier
	buffer_gl0_inv
	ds_read2_b64 v[3:6], v52 offset0:62 offset1:179
	ds_read2_b64 v[14:17], v38 offset0:40 offset1:157
	v_sub_nc_u32_e32 v1, v95, v101
	ds_read_b64 v[46:47], v89
	ds_read_b64 v[56:57], v2
	;; [unrolled: 1-line block ×4, first 2 shown]
	ds_read2_b64 v[18:21], v42 offset0:18 offset1:135
	ds_read_b64 v[62:63], v1
	ds_read_b64 v[64:65], v68
	s_waitcnt lgkmcnt(0)
	s_barrier
	buffer_gl0_inv
	ds_write_b128 v50, v[70:73]
	ds_write_b128 v94, v[74:77]
	;; [unrolled: 1-line block ×3, first 2 shown]
	v_lshlrev_b32_e32 v11, 4, v106
	v_lshlrev_b32_e32 v12, 4, v107
	;; [unrolled: 1-line block ×3, first 2 shown]
	ds_write_b128 v51, v[24:27]
	ds_write_b128 v95, v[102:105]
	;; [unrolled: 1-line block ×3, first 2 shown]
	s_waitcnt lgkmcnt(0)
	s_barrier
	buffer_gl0_inv
	s_clause 0x3
	global_load_dwordx4 v[7:10], v7, s[8:9]
	global_load_dwordx4 v[22:25], v11, s[8:9]
	global_load_dwordx4 v[26:29], v12, s[8:9]
	global_load_dwordx4 v[30:33], v13, s[8:9]
	ds_read2_b64 v[34:37], v52 offset0:62 offset1:179
	ds_read2_b64 v[38:41], v38 offset0:40 offset1:157
	;; [unrolled: 1-line block ×3, first 2 shown]
	v_lshlrev_b32_e32 v53, 1, v91
	v_lshlrev_b32_e32 v109, 1, v54
	;; [unrolled: 1-line block ×6, first 2 shown]
	v_and_b32_e32 v136, 3, v92
	v_and_b32_e32 v137, 3, v91
	;; [unrolled: 1-line block ×3, first 2 shown]
	s_mov_b32 s4, 0xe8584caa
	s_mov_b32 s5, 0xbfebb67a
	;; [unrolled: 1-line block ×4, first 2 shown]
	v_cmp_gt_u32_e64 s0, 0x6c, v83
	s_waitcnt vmcnt(3) lgkmcnt(2)
	v_mul_f64 v[11:12], v[34:35], v[9:10]
	v_mul_f64 v[78:79], v[3:4], v[9:10]
	s_waitcnt vmcnt(2)
	v_mul_f64 v[66:67], v[36:37], v[24:25]
	s_waitcnt lgkmcnt(1)
	v_mul_f64 v[70:71], v[38:39], v[9:10]
	s_waitcnt vmcnt(1)
	v_mul_f64 v[72:73], v[40:41], v[28:29]
	s_waitcnt lgkmcnt(0)
	v_mul_f64 v[74:75], v[42:43], v[9:10]
	s_waitcnt vmcnt(0)
	v_mul_f64 v[76:77], v[44:45], v[32:33]
	v_mul_f64 v[24:25], v[5:6], v[24:25]
	;; [unrolled: 1-line block ×6, first 2 shown]
	v_fma_f64 v[3:4], v[3:4], v[7:8], v[11:12]
	v_fma_f64 v[34:35], v[34:35], v[7:8], -v[78:79]
	v_fma_f64 v[5:6], v[5:6], v[22:23], v[66:67]
	v_fma_f64 v[11:12], v[14:15], v[7:8], v[70:71]
	;; [unrolled: 1-line block ×5, first 2 shown]
	v_fma_f64 v[21:22], v[36:37], v[22:23], -v[24:25]
	v_fma_f64 v[23:24], v[38:39], v[7:8], -v[96:97]
	;; [unrolled: 1-line block ×5, first 2 shown]
	ds_read_b64 v[19:20], v89
	ds_read_b64 v[66:67], v2
	;; [unrolled: 1-line block ×6, first 2 shown]
	v_and_or_b32 v41, 0x7fc, v109, v80
	v_and_or_b32 v42, 0x3fc, v53, v80
	;; [unrolled: 1-line block ×5, first 2 shown]
	v_and_b32_e32 v72, 3, v83
	v_and_or_b32 v74, 0x1fc, v52, v106
	v_lshlrev_b32_e32 v68, 5, v136
	v_add_nc_u32_e32 v75, 0x1000, v89
	v_add_f64 v[3:4], v[46:47], -v[3:4]
	v_lshl_add_u32 v106, v73, 3, 0
	v_add_f64 v[5:6], v[56:57], -v[5:6]
	v_add_f64 v[11:12], v[58:59], -v[11:12]
	;; [unrolled: 1-line block ×3, first 2 shown]
	s_waitcnt lgkmcnt(5)
	v_add_f64 v[27:28], v[19:20], -v[34:35]
	v_add_f64 v[15:16], v[62:63], -v[15:16]
	s_waitcnt lgkmcnt(4)
	v_add_f64 v[21:22], v[66:67], -v[21:22]
	s_waitcnt lgkmcnt(3)
	;; [unrolled: 2-line block ×4, first 2 shown]
	v_add_f64 v[29:30], v[102:103], -v[7:8]
	v_add_f64 v[17:18], v[64:65], -v[17:18]
	s_waitcnt lgkmcnt(0)
	v_add_f64 v[31:32], v[104:105], -v[9:10]
	v_lshlrev_b32_e32 v79, 5, v72
	v_lshl_add_u32 v107, v74, 3, 0
	v_add_nc_u32_e32 v74, 0x1800, v89
	v_lshlrev_b32_e32 v78, 5, v137
	v_lshlrev_b32_e32 v80, 5, v138
	v_add_nc_u32_e32 v73, 0x2000, v89
	s_barrier
	buffer_gl0_inv
	v_fma_f64 v[7:8], v[46:47], 2.0, -v[3:4]
	v_lshl_add_u32 v47, v42, 3, 0
	v_fma_f64 v[9:10], v[56:57], 2.0, -v[5:6]
	v_fma_f64 v[33:34], v[58:59], 2.0, -v[11:12]
	;; [unrolled: 1-line block ×4, first 2 shown]
	v_lshl_add_u32 v60, v41, 3, 0
	v_fma_f64 v[41:42], v[66:67], 2.0, -v[21:22]
	v_lshl_add_u32 v59, v43, 3, 0
	v_lshl_add_u32 v61, v44, 3, 0
	v_fma_f64 v[43:44], v[70:71], 2.0, -v[23:24]
	v_fma_f64 v[45:46], v[76:77], 2.0, -v[25:26]
	;; [unrolled: 1-line block ×6, first 2 shown]
	ds_write2_b64 v106, v[7:8], v[3:4] offset1:2
	ds_write2_b64 v107, v[9:10], v[5:6] offset1:2
	;; [unrolled: 1-line block ×6, first 2 shown]
	s_waitcnt lgkmcnt(0)
	s_barrier
	buffer_gl0_inv
	ds_read_b64 v[70:71], v89
	ds_read2_b64 v[4:7], v74 offset0:51 offset1:168
	ds_read2_b64 v[8:11], v75 offset0:73 offset1:190
	ds_read_b64 v[36:37], v1
	ds_read_b64 v[96:97], v0
	;; [unrolled: 1-line block ×4, first 2 shown]
	ds_read_b64 v[38:39], v89 offset:10296
	ds_read2_b64 v[12:15], v73 offset0:29 offset1:146
	s_waitcnt lgkmcnt(0)
	s_barrier
	buffer_gl0_inv
	ds_write2_b64 v106, v[19:20], v[27:28] offset1:2
	ds_write2_b64 v107, v[41:42], v[21:22] offset1:2
	;; [unrolled: 1-line block ×6, first 2 shown]
	s_waitcnt lgkmcnt(0)
	s_barrier
	buffer_gl0_inv
	s_clause 0x7
	global_load_dwordx4 v[16:19], v68, s[8:9] offset:32
	global_load_dwordx4 v[20:23], v79, s[8:9] offset:48
	;; [unrolled: 1-line block ×8, first 2 shown]
	ds_read2_b64 v[106:109], v75 offset0:73 offset1:190
	ds_read2_b64 v[110:113], v74 offset0:51 offset1:168
	ds_read_b64 v[46:47], v1
	ds_read2_b64 v[114:117], v73 offset0:29 offset1:146
	ds_read_b64 v[122:123], v89 offset:10296
	ds_read_b64 v[0:1], v0
	ds_read_b64 v[2:3], v2
	;; [unrolled: 1-line block ×3, first 2 shown]
	s_waitcnt vmcnt(7) lgkmcnt(7)
	v_mul_f64 v[30:31], v[106:107], v[18:19]
	s_waitcnt vmcnt(6) lgkmcnt(6)
	v_mul_f64 v[40:41], v[112:113], v[22:23]
	;; [unrolled: 2-line block ×3, first 2 shown]
	s_waitcnt vmcnt(4)
	v_mul_f64 v[44:45], v[108:109], v[61:62]
	s_waitcnt vmcnt(3) lgkmcnt(4)
	v_mul_f64 v[63:64], v[114:115], v[34:35]
	s_waitcnt vmcnt(2)
	v_mul_f64 v[124:125], v[116:117], v[78:79]
	s_waitcnt vmcnt(1)
	v_mul_f64 v[126:127], v[110:111], v[67:68]
	s_waitcnt vmcnt(0) lgkmcnt(3)
	v_mul_f64 v[128:129], v[122:123], v[104:105]
	v_mul_f64 v[18:19], v[8:9], v[18:19]
	v_mul_f64 v[130:131], v[10:11], v[61:62]
	v_mul_f64 v[132:133], v[12:13], v[34:35]
	v_mul_f64 v[78:79], v[14:15], v[78:79]
	v_mul_f64 v[22:23], v[6:7], v[22:23]
	v_mul_f64 v[134:135], v[4:5], v[67:68]
	v_mul_f64 v[26:27], v[36:37], v[26:27]
	v_mul_f64 v[104:105], v[38:39], v[104:105]
	v_fma_f64 v[30:31], v[8:9], v[16:17], v[30:31]
	v_fma_f64 v[55:56], v[6:7], v[20:21], v[40:41]
	;; [unrolled: 1-line block ×8, first 2 shown]
	v_fma_f64 v[61:62], v[106:107], v[16:17], -v[18:19]
	v_fma_f64 v[63:64], v[108:109], v[59:60], -v[130:131]
	;; [unrolled: 1-line block ×8, first 2 shown]
	v_add_f64 v[16:17], v[120:121], v[30:31]
	v_add_f64 v[4:5], v[57:58], v[55:56]
	;; [unrolled: 1-line block ×8, first 2 shown]
	v_add_f64 v[12:13], v[61:62], -v[32:33]
	v_add_f64 v[78:79], v[63:64], -v[59:60]
	;; [unrolled: 1-line block ×3, first 2 shown]
	v_add_f64 v[22:23], v[16:17], v[44:45]
	v_fma_f64 v[26:27], v[4:5], -0.5, v[70:71]
	v_add_f64 v[70:71], v[65:66], -v[46:47]
	v_fma_f64 v[76:77], v[6:7], -0.5, v[120:121]
	v_fma_f64 v[102:103], v[8:9], -0.5, v[118:119]
	v_lshrrev_b32_e32 v4, 2, v83
	v_fma_f64 v[96:97], v[10:11], -0.5, v[96:97]
	v_lshrrev_b32_e32 v5, 2, v92
	v_lshrrev_b32_e32 v6, 2, v91
	;; [unrolled: 1-line block ×3, first 2 shown]
	v_mul_u32_u24_e32 v80, 12, v4
	v_add_f64 v[8:9], v[20:21], v[42:43]
	v_mul_lo_u32 v104, v5, 12
	v_mul_lo_u32 v105, v6, 12
	;; [unrolled: 1-line block ×3, first 2 shown]
	v_add_f64 v[4:5], v[14:15], v[55:56]
	v_add_f64 v[14:15], v[24:25], v[38:39]
	v_fma_f64 v[6:7], v[18:19], s[4:5], v[26:27]
	v_fma_f64 v[20:21], v[18:19], s[6:7], v[26:27]
	;; [unrolled: 1-line block ×8, first 2 shown]
	ds_read_b64 v[69:70], v69
	v_or_b32_e32 v71, v80, v72
	v_or_b32_e32 v72, v104, v136
	;; [unrolled: 1-line block ×4, first 2 shown]
	s_waitcnt lgkmcnt(0)
	v_lshl_add_u32 v79, v71, 3, 0
	v_lshl_add_u32 v78, v72, 3, 0
	;; [unrolled: 1-line block ×4, first 2 shown]
	s_barrier
	buffer_gl0_inv
	ds_write2_b64 v79, v[4:5], v[6:7] offset1:4
	ds_write_b64 v79, v[20:21] offset:64
	ds_write2_b64 v78, v[22:23], v[24:25] offset1:4
	ds_write_b64 v78, v[26:27] offset:64
	;; [unrolled: 2-line block ×4, first 2 shown]
	s_waitcnt lgkmcnt(0)
	s_barrier
	buffer_gl0_inv
                                        ; implicit-def: $vgpr71_vgpr72
	s_and_saveexec_b32 s1, s0
	s_cbranch_execz .LBB0_15
; %bb.14:
	v_add_nc_u32_e32 v12, 0x400, v89
	v_add_nc_u32_e32 v13, 0xc00, v89
	ds_read2_b64 v[4:7], v89 offset1:108
	ds_read2_b64 v[8:11], v75 offset0:136 offset1:244
	ds_read2_b64 v[20:23], v12 offset0:88 offset1:196
	;; [unrolled: 1-line block ×5, first 2 shown]
	ds_read_b64 v[71:72], v89 offset:10368
.LBB0_15:
	s_or_b32 exec_lo, exec_lo, s1
	v_add_f64 v[73:74], v[67:68], v[40:41]
	v_add_f64 v[96:97], v[61:62], v[32:33]
	;; [unrolled: 1-line block ×5, first 2 shown]
	v_add_f64 v[55:56], v[57:58], -v[55:56]
	v_add_f64 v[57:58], v[2:3], v[61:62]
	v_add_f64 v[61:62], v[69:70], v[63:64]
	v_add_f64 v[63:64], v[0:1], v[65:66]
	v_add_f64 v[65:66], v[30:31], -v[44:45]
	v_add_f64 v[38:39], v[36:37], -v[38:39]
	s_waitcnt lgkmcnt(0)
	s_barrier
	buffer_gl0_inv
	v_fma_f64 v[28:29], v[73:74], -0.5, v[28:29]
	v_fma_f64 v[73:74], v[96:97], -0.5, v[2:3]
	v_add_f64 v[96:97], v[34:35], -v[42:43]
	v_fma_f64 v[69:70], v[102:103], -0.5, v[69:70]
	v_fma_f64 v[102:103], v[104:105], -0.5, v[0:1]
	v_add_f64 v[0:1], v[67:68], v[40:41]
	v_add_f64 v[42:43], v[57:58], v[32:33]
	;; [unrolled: 1-line block ×4, first 2 shown]
	v_fma_f64 v[2:3], v[55:56], s[6:7], v[28:29]
	v_fma_f64 v[40:41], v[55:56], s[4:5], v[28:29]
	;; [unrolled: 1-line block ×8, first 2 shown]
                                        ; implicit-def: $vgpr73_vgpr74
	ds_write2_b64 v79, v[0:1], v[2:3] offset1:4
	ds_write_b64 v79, v[40:41] offset:64
	ds_write2_b64 v78, v[42:43], v[44:45] offset1:4
	ds_write_b64 v78, v[46:47] offset:64
	;; [unrolled: 2-line block ×4, first 2 shown]
	s_waitcnt lgkmcnt(0)
	s_barrier
	buffer_gl0_inv
	s_and_saveexec_b32 s1, s0
	s_cbranch_execz .LBB0_17
; %bb.16:
	v_add_nc_u32_e32 v28, 0x400, v89
	v_add_nc_u32_e32 v29, 0xc00, v89
	;; [unrolled: 1-line block ×5, first 2 shown]
	ds_read2_b64 v[0:3], v89 offset1:108
	ds_read2_b64 v[40:43], v28 offset0:88 offset1:196
	ds_read2_b64 v[44:47], v29 offset0:48 offset1:156
	;; [unrolled: 1-line block ×5, first 2 shown]
	ds_read_b64 v[73:74], v89 offset:10368
.LBB0_17:
	s_or_b32 exec_lo, exec_lo, s1
	v_and_b32_e32 v55, 0xff, v83
	v_mov_b32_e32 v56, 12
	v_mul_lo_u16 v55, 0xab, v55
	v_lshrrev_b16 v96, 11, v55
	v_mul_lo_u16 v55, v96, 12
	v_sub_nc_u16 v97, v83, v55
	v_mul_u32_u24_sdwa v55, v97, v56 dst_sel:DWORD dst_unused:UNUSED_PAD src0_sel:BYTE_0 src1_sel:DWORD
	v_lshlrev_b32_e32 v67, 4, v55
	s_clause 0xb
	global_load_dwordx4 v[55:58], v67, s[8:9] offset:176
	global_load_dwordx4 v[59:62], v67, s[8:9] offset:192
	;; [unrolled: 1-line block ×12, first 2 shown]
	s_waitcnt vmcnt(0) lgkmcnt(0)
	s_barrier
	buffer_gl0_inv
	v_mul_f64 v[67:68], v[40:41], v[57:58]
	v_mul_f64 v[57:58], v[20:21], v[57:58]
	;; [unrolled: 1-line block ×24, first 2 shown]
	v_fma_f64 v[65:66], v[20:21], v[55:56], v[67:68]
	v_fma_f64 v[67:68], v[40:41], v[55:56], -v[57:58]
	v_fma_f64 v[61:62], v[22:23], v[59:60], v[69:70]
	v_fma_f64 v[55:56], v[42:43], v[59:60], -v[79:80]
	;; [unrolled: 2-line block ×12, first 2 shown]
	v_sub_nc_u32_e32 v8, 0, v98
	v_sub_nc_u32_e32 v7, 0, v99
	;; [unrolled: 1-line block ×4, first 2 shown]
	s_and_saveexec_b32 s1, s0
	s_cbranch_execz .LBB0_19
; %bb.18:
	v_add_f64 v[18:19], v[4:5], v[75:76]
	v_add_f64 v[9:10], v[77:78], -v[14:15]
	s_mov_b32 s10, 0x4bc48dbf
	s_mov_b32 s11, 0xbfcea1e5
	v_add_f64 v[38:39], v[67:68], -v[16:17]
	v_add_f64 v[71:72], v[75:76], v[79:80]
	s_mov_b32 s20, 0x24c2f84
	s_mov_b32 s21, 0xbfe5384d
	;; [unrolled: 1-line block ×3, first 2 shown]
	v_add_f64 v[11:12], v[32:33], -v[26:27]
	v_add_f64 v[30:31], v[40:41], -v[24:25]
	;; [unrolled: 1-line block ×4, first 2 shown]
	s_mov_b32 s39, 0x3fddbe06
	s_mov_b32 s38, 0x4267c47c
	;; [unrolled: 1-line block ×3, first 2 shown]
	v_add_f64 v[104:105], v[65:66], v[69:70]
	s_mov_b32 s26, 0x66966769
	s_mov_b32 s24, 0x2ef20147
	;; [unrolled: 1-line block ×5, first 2 shown]
	v_add_f64 v[18:19], v[18:19], v[65:66]
	v_mul_f64 v[102:103], v[9:10], s[10:11]
	v_mul_f64 v[108:109], v[9:10], s[20:21]
	s_mov_b32 s25, 0xbfedeba7
	v_mul_f64 v[110:111], v[38:39], s[38:39]
	s_mov_b32 s23, 0x3fea55e2
	s_mov_b32 s17, 0xbfe7f3cc
	;; [unrolled: 1-line block ×6, first 2 shown]
	v_mul_f64 v[116:117], v[9:10], s[24:25]
	v_mul_f64 v[122:123], v[38:39], s[26:27]
	;; [unrolled: 1-line block ×4, first 2 shown]
	s_mov_b32 s18, 0xe00740e9
	s_mov_b32 s19, 0x3fec55a7
	v_mul_f64 v[120:121], v[30:31], s[38:39]
	v_mul_f64 v[124:125], v[100:101], s[38:39]
	v_mul_f64 v[128:129], v[73:74], s[38:39]
	v_mul_f64 v[132:133], v[11:12], s[38:39]
	s_mov_b32 s39, 0xbfddbe06
	v_add_f64 v[18:19], v[18:19], v[61:62]
	v_fma_f64 v[112:113], v[71:72], s[14:15], -v[102:103]
	v_fma_f64 v[102:103], v[71:72], s[14:15], v[102:103]
	v_fma_f64 v[134:135], v[71:72], s[16:17], -v[108:109]
	v_add_f64 v[98:99], v[61:62], v[63:64]
	v_mul_f64 v[118:119], v[100:101], s[20:21]
	v_fma_f64 v[136:137], v[104:105], s[18:19], -v[110:111]
	v_mul_f64 v[9:10], v[9:10], s[38:39]
	s_mov_b32 s6, 0xebaa3ed8
	s_mov_b32 s4, 0xb2365da1
	;; [unrolled: 1-line block ×8, first 2 shown]
	v_add_f64 v[36:37], v[59:60], v[28:29]
	v_mul_f64 v[126:127], v[38:39], s[36:37]
	v_mul_f64 v[140:141], v[73:74], s[22:23]
	;; [unrolled: 1-line block ×4, first 2 shown]
	v_fma_f64 v[108:109], v[71:72], s[16:17], v[108:109]
	v_add_f64 v[18:19], v[18:19], v[59:60]
	v_add_f64 v[112:113], v[4:5], v[112:113]
	v_fma_f64 v[110:111], v[104:105], s[18:19], v[110:111]
	v_fma_f64 v[160:161], v[104:105], s[6:7], -v[122:123]
	v_add_f64 v[102:103], v[4:5], v[102:103]
	v_add_f64 v[134:135], v[4:5], v[134:135]
	v_fma_f64 v[164:165], v[71:72], s[4:5], -v[116:117]
	v_fma_f64 v[116:117], v[71:72], s[4:5], v[116:117]
	v_fma_f64 v[166:167], v[71:72], s[6:7], -v[130:131]
	v_fma_f64 v[130:131], v[71:72], s[6:7], v[130:131]
	;; [unrolled: 2-line block ×3, first 2 shown]
	v_mul_f64 v[38:39], v[38:39], s[30:31]
	v_fma_f64 v[162:163], v[98:99], s[16:17], -v[118:119]
	v_fma_f64 v[178:179], v[71:72], s[18:19], v[9:10]
	v_fma_f64 v[9:10], v[71:72], s[18:19], -v[9:10]
	s_mov_b32 s43, 0x3fedeba7
	s_mov_b32 s42, s24
	v_mul_f64 v[142:143], v[100:101], s[30:31]
	v_mul_f64 v[152:153], v[100:101], s[42:43]
	;; [unrolled: 1-line block ×3, first 2 shown]
	v_fma_f64 v[122:123], v[104:105], s[6:7], v[122:123]
	v_add_f64 v[18:19], v[18:19], v[57:58]
	v_add_f64 v[112:113], v[136:137], v[112:113]
	v_fma_f64 v[168:169], v[104:105], s[16:17], -v[126:127]
	v_fma_f64 v[126:127], v[104:105], s[16:17], v[126:127]
	v_fma_f64 v[118:119], v[98:99], s[16:17], v[118:119]
	v_fma_f64 v[172:173], v[104:105], s[14:15], -v[144:145]
	v_fma_f64 v[176:177], v[36:37], s[28:29], -v[140:141]
	v_add_f64 v[108:109], v[4:5], v[108:109]
	v_add_f64 v[102:103], v[110:111], v[102:103]
	;; [unrolled: 1-line block ×3, first 2 shown]
	v_fma_f64 v[134:135], v[36:37], s[28:29], v[140:141]
	v_fma_f64 v[140:141], v[104:105], s[14:15], v[144:145]
	v_fma_f64 v[71:72], v[104:105], s[4:5], -v[146:147]
	v_add_f64 v[144:145], v[4:5], v[164:165]
	v_fma_f64 v[146:147], v[104:105], s[4:5], v[146:147]
	v_add_f64 v[116:117], v[4:5], v[116:117]
	v_add_f64 v[164:165], v[4:5], v[166:167]
	;; [unrolled: 1-line block ×5, first 2 shown]
	v_mul_f64 v[100:101], v[100:101], s[40:41]
	v_add_f64 v[178:179], v[4:5], v[178:179]
	v_add_f64 v[18:19], v[18:19], v[44:45]
	;; [unrolled: 1-line block ×3, first 2 shown]
	v_fma_f64 v[162:163], v[104:105], s[28:29], v[38:39]
	v_add_f64 v[3:4], v[4:5], v[9:10]
	v_fma_f64 v[38:39], v[104:105], s[28:29], -v[38:39]
	s_mov_b32 s35, 0x3fcea1e5
	s_mov_b32 s34, s10
	v_add_f64 v[106:107], v[57:58], v[34:35]
	v_mul_f64 v[148:149], v[30:31], s[24:25]
	v_mul_f64 v[150:151], v[73:74], s[34:35]
	;; [unrolled: 1-line block ×4, first 2 shown]
	v_fma_f64 v[174:175], v[98:99], s[28:29], -v[142:143]
	v_fma_f64 v[142:143], v[98:99], s[28:29], v[142:143]
	v_fma_f64 v[180:181], v[98:99], s[18:19], -v[124:125]
	v_fma_f64 v[124:125], v[98:99], s[18:19], v[124:125]
	v_add_f64 v[108:109], v[122:123], v[108:109]
	v_add_f64 v[102:103], v[118:119], v[102:103]
	v_fma_f64 v[118:119], v[98:99], s[4:5], -v[152:153]
	v_add_f64 v[104:105], v[168:169], v[144:145]
	v_fma_f64 v[122:123], v[98:99], s[14:15], -v[154:155]
	v_fma_f64 v[144:145], v[98:99], s[14:15], v[154:155]
	v_add_f64 v[9:10], v[18:19], v[46:47]
	v_fma_f64 v[18:19], v[98:99], s[4:5], v[152:153]
	v_add_f64 v[116:117], v[126:127], v[116:117]
	v_add_f64 v[152:153], v[172:173], v[164:165]
	;; [unrolled: 1-line block ×5, first 2 shown]
	v_mul_f64 v[73:74], v[73:74], s[24:25]
	v_fma_f64 v[126:127], v[98:99], s[6:7], -v[100:101]
	v_fma_f64 v[98:99], v[98:99], s[6:7], v[100:101]
	v_add_f64 v[146:147], v[162:163], v[178:179]
	v_add_f64 v[3:4], v[38:39], v[3:4]
	v_fma_f64 v[160:161], v[106:107], s[4:5], -v[148:149]
	v_fma_f64 v[166:167], v[36:37], s[14:15], -v[150:151]
	v_add_f64 v[110:111], v[174:175], v[110:111]
	v_mul_f64 v[38:39], v[30:31], s[34:35]
	v_add_f64 v[108:109], v[142:143], v[108:109]
	v_add_f64 v[102:103], v[134:135], v[102:103]
	v_fma_f64 v[134:135], v[106:107], s[4:5], v[148:149]
	v_fma_f64 v[142:143], v[36:37], s[14:15], v[150:151]
	v_add_f64 v[104:105], v[180:181], v[104:105]
	v_fma_f64 v[148:149], v[36:37], s[6:7], -v[158:159]
	v_add_f64 v[9:10], v[9:10], v[34:35]
	v_fma_f64 v[150:151], v[36:37], s[6:7], v[158:159]
	v_add_f64 v[116:117], v[124:125], v[116:117]
	v_mul_f64 v[124:125], v[30:31], s[30:31]
	v_add_f64 v[118:119], v[118:119], v[152:153]
	v_fma_f64 v[152:153], v[36:37], s[18:19], -v[128:129]
	v_fma_f64 v[128:129], v[36:37], s[18:19], v[128:129]
	v_add_f64 v[18:19], v[18:19], v[130:131]
	v_mul_f64 v[130:131], v[30:31], s[26:27]
	v_add_f64 v[71:72], v[122:123], v[71:72]
	v_fma_f64 v[122:123], v[36:37], s[16:17], -v[136:137]
	v_fma_f64 v[136:137], v[36:37], s[16:17], v[136:137]
	v_add_f64 v[138:139], v[144:145], v[138:139]
	v_fma_f64 v[144:145], v[36:37], s[4:5], -v[73:74]
	v_fma_f64 v[36:37], v[36:37], s[4:5], v[73:74]
	v_mul_f64 v[30:31], v[30:31], s[20:21]
	v_add_f64 v[98:99], v[98:99], v[146:147]
	v_add_f64 v[3:4], v[126:127], v[3:4]
	;; [unrolled: 1-line block ×3, first 2 shown]
	v_mul_f64 v[156:157], v[11:12], s[26:27]
	v_add_f64 v[112:113], v[176:177], v[112:113]
	v_add_f64 v[110:111], v[166:167], v[110:111]
	;; [unrolled: 1-line block ×3, first 2 shown]
	v_mul_f64 v[73:74], v[11:12], s[24:25]
	v_fma_f64 v[146:147], v[106:107], s[18:19], -v[120:121]
	v_fma_f64 v[120:121], v[106:107], s[18:19], v[120:121]
	v_add_f64 v[108:109], v[142:143], v[108:109]
	v_mul_f64 v[126:127], v[11:12], s[22:23]
	v_fma_f64 v[142:143], v[106:107], s[14:15], -v[38:39]
	v_add_f64 v[104:105], v[148:149], v[104:105]
	v_add_f64 v[116:117], v[150:151], v[116:117]
	v_mul_f64 v[148:149], v[11:12], s[20:21]
	v_fma_f64 v[150:151], v[106:107], s[28:29], -v[124:125]
	v_fma_f64 v[124:125], v[106:107], s[28:29], v[124:125]
	v_add_f64 v[18:19], v[128:129], v[18:19]
	v_fma_f64 v[128:129], v[106:107], s[6:7], -v[130:131]
	v_add_f64 v[71:72], v[122:123], v[71:72]
	v_fma_f64 v[122:123], v[106:107], s[6:7], v[130:131]
	v_add_f64 v[130:131], v[136:137], v[138:139]
	v_fma_f64 v[38:39], v[106:107], s[14:15], v[38:39]
	v_add_f64 v[118:119], v[152:153], v[118:119]
	v_mul_f64 v[11:12], v[11:12], s[10:11]
	v_fma_f64 v[136:137], v[106:107], s[16:17], -v[30:31]
	v_fma_f64 v[30:31], v[106:107], s[16:17], v[30:31]
	v_add_f64 v[36:37], v[36:37], v[98:99]
	v_add_f64 v[9:10], v[9:10], v[63:64]
	;; [unrolled: 1-line block ×3, first 2 shown]
	v_fma_f64 v[100:101], v[114:115], s[6:7], -v[156:157]
	v_add_f64 v[112:113], v[160:161], v[112:113]
	v_add_f64 v[98:99], v[134:135], v[102:103]
	v_fma_f64 v[102:103], v[114:115], s[4:5], -v[73:74]
	v_add_f64 v[106:107], v[146:147], v[110:111]
	v_add_f64 v[108:109], v[120:121], v[108:109]
	v_fma_f64 v[110:111], v[114:115], s[28:29], -v[126:127]
	v_add_f64 v[104:105], v[142:143], v[104:105]
	v_fma_f64 v[120:121], v[114:115], s[28:29], v[126:127]
	v_fma_f64 v[126:127], v[114:115], s[16:17], v[148:149]
	v_add_f64 v[18:19], v[124:125], v[18:19]
	v_fma_f64 v[124:125], v[114:115], s[18:19], -v[132:133]
	v_fma_f64 v[132:133], v[114:115], s[18:19], v[132:133]
	v_add_f64 v[122:123], v[122:123], v[130:131]
	v_fma_f64 v[73:74], v[114:115], s[4:5], v[73:74]
	v_add_f64 v[38:39], v[38:39], v[116:117]
	v_fma_f64 v[140:141], v[114:115], s[6:7], v[156:157]
	v_fma_f64 v[116:117], v[114:115], s[16:17], -v[148:149]
	v_add_f64 v[118:119], v[150:151], v[118:119]
	v_add_f64 v[71:72], v[128:129], v[71:72]
	v_fma_f64 v[128:129], v[114:115], s[14:15], -v[11:12]
	v_fma_f64 v[11:12], v[114:115], s[14:15], v[11:12]
	v_add_f64 v[30:31], v[30:31], v[36:37]
	v_add_f64 v[9:10], v[9:10], v[69:70]
	;; [unrolled: 1-line block ×5, first 2 shown]
	v_mov_b32_e32 v5, 0x4e0
	v_mov_b32_e32 v13, 3
	v_add_f64 v[102:103], v[110:111], v[104:105]
	v_add_f64 v[18:19], v[126:127], v[18:19]
	v_mul_u32_u24_sdwa v5, v96, v5 dst_sel:DWORD dst_unused:UNUSED_PAD src0_sel:WORD_0 src1_sel:DWORD
	v_lshlrev_b32_sdwa v13, v13, v97 dst_sel:DWORD dst_unused:UNUSED_PAD src0_sel:DWORD src1_sel:BYTE_0
	v_add_f64 v[104:105], v[132:133], v[122:123]
	v_add_f64 v[73:74], v[73:74], v[108:109]
	;; [unrolled: 1-line block ×4, first 2 shown]
	v_add3_u32 v5, 0, v5, v13
	v_add_f64 v[106:107], v[116:117], v[118:119]
	v_add_f64 v[71:72], v[124:125], v[71:72]
	v_add_f64 v[11:12], v[11:12], v[30:31]
	v_add_f64 v[9:10], v[9:10], v[79:80]
	v_add_f64 v[3:4], v[128:129], v[3:4]
	ds_write2_b64 v5, v[104:105], v[18:19] offset0:24 offset1:36
	ds_write2_b64 v5, v[38:39], v[73:74] offset0:48 offset1:60
	;; [unrolled: 1-line block ×5, first 2 shown]
	ds_write2_b64 v5, v[9:10], v[11:12] offset1:12
	ds_write_b64 v5, v[3:4] offset:1152
.LBB0_19:
	s_or_b32 exec_lo, exec_lo, s1
	v_add_nc_u32_e32 v99, 0x1800, v89
	v_add_nc_u32_e32 v94, v94, v8
	;; [unrolled: 1-line block ×6, first 2 shown]
	s_waitcnt lgkmcnt(0)
	s_barrier
	buffer_gl0_inv
	ds_read_b64 v[18:19], v89
	v_add_nc_u32_e32 v95, v95, v2
	ds_read2_b64 v[2:5], v99 offset0:51 offset1:168
	ds_read_b64 v[30:31], v94
	ds_read2_b64 v[6:9], v100 offset0:73 offset1:190
	ds_read2_b64 v[10:13], v101 offset0:29 offset1:146
	ds_read_b64 v[38:39], v93
	ds_read_b64 v[36:37], v98
	;; [unrolled: 1-line block ×3, first 2 shown]
	ds_read_b64 v[71:72], v89 offset:10296
	s_waitcnt lgkmcnt(0)
	s_barrier
	buffer_gl0_inv
	s_and_saveexec_b32 s33, s0
	s_cbranch_execz .LBB0_21
; %bb.20:
	v_add_f64 v[102:103], v[0:1], v[77:78]
	v_add_f64 v[75:76], v[75:76], -v[79:80]
	v_add_f64 v[44:45], v[44:45], -v[46:47]
	v_add_f64 v[77:78], v[77:78], v[14:15]
	v_add_f64 v[61:62], v[61:62], -v[63:64]
	v_add_f64 v[63:64], v[42:43], v[22:23]
	s_mov_b32 s34, 0xe00740e9
	s_mov_b32 s36, 0x1ea71119
	;; [unrolled: 1-line block ×12, first 2 shown]
	v_add_f64 v[65:66], v[65:66], -v[69:70]
	v_add_f64 v[69:70], v[55:56], v[20:21]
	v_add_f64 v[28:29], v[59:60], -v[28:29]
	v_add_f64 v[59:60], v[40:41], v[24:25]
	v_add_f64 v[79:80], v[102:103], v[67:68]
	;; [unrolled: 1-line block ×3, first 2 shown]
	s_mov_b32 s0, 0x4267c47c
	v_mul_f64 v[102:103], v[77:78], s[18:19]
	v_mul_f64 v[104:105], v[77:78], s[38:39]
	;; [unrolled: 1-line block ×3, first 2 shown]
	s_mov_b32 s6, 0x42a4c3d2
	s_mov_b32 s10, 0x66966769
	;; [unrolled: 1-line block ×16, first 2 shown]
	v_add_f64 v[46:47], v[79:80], v[55:56]
	v_mul_f64 v[55:56], v[77:78], s[34:35]
	v_mul_f64 v[79:80], v[77:78], s[36:37]
	;; [unrolled: 1-line block ×3, first 2 shown]
	s_mov_b32 s16, s10
	s_mov_b32 s20, s22
	;; [unrolled: 1-line block ×7, first 2 shown]
	v_mul_f64 v[108:109], v[67:68], s[36:37]
	v_mul_f64 v[110:111], v[67:68], s[38:39]
	;; [unrolled: 1-line block ×3, first 2 shown]
	v_fma_f64 v[158:159], v[75:76], s[10:11], v[102:103]
	v_mul_f64 v[114:115], v[67:68], s[40:41]
	v_mul_f64 v[116:117], v[67:68], s[18:19]
	v_fma_f64 v[102:103], v[75:76], s[16:17], v[102:103]
	v_fma_f64 v[160:161], v[75:76], s[22:23], v[104:105]
	v_fma_f64 v[104:105], v[75:76], s[20:21], v[104:105]
	v_fma_f64 v[162:163], v[75:76], s[26:27], v[106:107]
	v_add_f64 v[34:35], v[57:58], -v[34:35]
	v_add_f64 v[42:43], v[46:47], v[42:43]
	v_fma_f64 v[156:157], v[75:76], s[0:1], v[55:56]
	v_add_f64 v[57:58], v[32:33], v[26:27]
	v_mul_f64 v[67:68], v[67:68], s[34:35]
	v_fma_f64 v[106:107], v[75:76], s[24:25], v[106:107]
	v_fma_f64 v[164:165], v[75:76], s[30:31], v[77:78]
	v_mul_f64 v[118:119], v[69:70], s[18:19]
	v_mul_f64 v[120:121], v[69:70], s[42:43]
	v_mul_f64 v[122:123], v[69:70], s[38:39]
	v_mul_f64 v[46:47], v[69:70], s[34:35]
	v_mul_f64 v[124:125], v[69:70], s[36:37]
	v_mul_f64 v[69:70], v[69:70], s[40:41]
	v_fma_f64 v[166:167], v[65:66], s[22:23], v[110:111]
	v_fma_f64 v[110:111], v[65:66], s[20:21], v[110:111]
	;; [unrolled: 1-line block ×3, first 2 shown]
	v_add_f64 v[158:159], v[0:1], v[158:159]
	v_fma_f64 v[112:113], v[65:66], s[28:29], v[112:113]
	v_fma_f64 v[170:171], v[65:66], s[24:25], v[114:115]
	;; [unrolled: 1-line block ×4, first 2 shown]
	v_add_f64 v[102:103], v[0:1], v[102:103]
	v_add_f64 v[160:161], v[0:1], v[160:161]
	;; [unrolled: 1-line block ×3, first 2 shown]
	v_fma_f64 v[42:43], v[75:76], s[4:5], v[55:56]
	v_fma_f64 v[55:56], v[75:76], s[6:7], v[79:80]
	;; [unrolled: 1-line block ×5, first 2 shown]
	v_add_f64 v[156:157], v[0:1], v[156:157]
	v_add_f64 v[104:105], v[0:1], v[104:105]
	;; [unrolled: 1-line block ×3, first 2 shown]
	v_fma_f64 v[108:109], v[65:66], s[14:15], v[108:109]
	v_fma_f64 v[116:117], v[65:66], s[10:11], v[116:117]
	v_add_f64 v[164:165], v[0:1], v[164:165]
	v_add_f64 v[106:107], v[0:1], v[106:107]
	v_mul_f64 v[126:127], v[63:64], s[38:39]
	v_mul_f64 v[128:129], v[63:64], s[40:41]
	;; [unrolled: 1-line block ×3, first 2 shown]
	v_fma_f64 v[174:175], v[61:62], s[30:31], v[120:121]
	v_fma_f64 v[120:121], v[61:62], s[28:29], v[120:121]
	;; [unrolled: 1-line block ×3, first 2 shown]
	v_mul_f64 v[132:133], v[63:64], s[18:19]
	v_mul_f64 v[134:135], v[63:64], s[42:43]
	v_fma_f64 v[178:179], v[61:62], s[4:5], v[46:47]
	v_add_f64 v[32:33], v[40:41], v[32:33]
	v_fma_f64 v[40:41], v[65:66], s[4:5], v[67:68]
	v_add_f64 v[55:56], v[0:1], v[55:56]
	v_add_f64 v[79:80], v[0:1], v[79:80]
	v_fma_f64 v[65:66], v[65:66], s[0:1], v[67:68]
	v_add_f64 v[75:76], v[0:1], v[75:76]
	;; [unrolled: 3-line block ×3, first 2 shown]
	v_add_f64 v[102:103], v[112:113], v[102:103]
	v_add_f64 v[112:113], v[170:171], v[160:161]
	;; [unrolled: 1-line block ×4, first 2 shown]
	v_mul_f64 v[63:64], v[63:64], s[36:37]
	v_fma_f64 v[118:119], v[61:62], s[16:17], v[118:119]
	v_fma_f64 v[122:123], v[61:62], s[22:23], v[122:123]
	;; [unrolled: 1-line block ×4, first 2 shown]
	v_add_f64 v[106:107], v[116:117], v[106:107]
	v_mul_f64 v[138:139], v[59:60], s[18:19]
	v_mul_f64 v[140:141], v[59:60], s[36:37]
	v_fma_f64 v[42:43], v[28:29], s[20:21], v[126:127]
	v_add_f64 v[26:27], v[32:33], v[26:27]
	v_fma_f64 v[32:33], v[61:62], s[6:7], v[124:125]
	v_add_f64 v[55:56], v[166:167], v[55:56]
	v_add_f64 v[79:80], v[110:111], v[79:80]
	;; [unrolled: 1-line block ×3, first 2 shown]
	v_fma_f64 v[124:125], v[61:62], s[14:15], v[124:125]
	v_fma_f64 v[61:62], v[61:62], s[24:25], v[69:70]
	v_add_f64 v[40:41], v[40:41], v[164:165]
	v_add_f64 v[65:66], v[65:66], v[75:76]
	;; [unrolled: 1-line block ×3, first 2 shown]
	v_fma_f64 v[69:70], v[28:29], s[22:23], v[126:127]
	v_fma_f64 v[126:127], v[28:29], s[24:25], v[128:129]
	;; [unrolled: 1-line block ×4, first 2 shown]
	v_add_f64 v[67:68], v[67:68], v[77:78]
	v_mul_f64 v[136:137], v[59:60], s[40:41]
	v_mul_f64 v[142:143], v[59:60], s[42:43]
	;; [unrolled: 1-line block ×3, first 2 shown]
	v_fma_f64 v[75:76], v[28:29], s[10:11], v[132:133]
	v_mul_f64 v[59:60], v[59:60], s[38:39]
	v_fma_f64 v[116:117], v[28:29], s[16:17], v[132:133]
	v_fma_f64 v[132:133], v[28:29], s[30:31], v[134:135]
	v_add_f64 v[24:25], v[26:27], v[24:25]
	v_fma_f64 v[26:27], v[28:29], s[0:1], v[130:131]
	v_add_f64 v[55:56], v[174:175], v[55:56]
	v_add_f64 v[77:78], v[120:121], v[79:80]
	;; [unrolled: 1-line block ×3, first 2 shown]
	v_fma_f64 v[130:131], v[28:29], s[28:29], v[134:135]
	v_add_f64 v[110:111], v[178:179], v[112:113]
	v_add_f64 v[32:33], v[32:33], v[114:115]
	v_fma_f64 v[108:109], v[28:29], s[14:15], v[63:64]
	v_fma_f64 v[28:29], v[28:29], s[6:7], v[63:64]
	v_add_f64 v[40:41], v[180:181], v[40:41]
	v_add_f64 v[61:62], v[61:62], v[65:66]
	;; [unrolled: 1-line block ×6, first 2 shown]
	v_mul_f64 v[148:149], v[57:58], s[34:35]
	v_mul_f64 v[150:151], v[57:58], s[40:41]
	v_fma_f64 v[134:135], v[34:35], s[16:17], v[138:139]
	v_fma_f64 v[65:66], v[34:35], s[6:7], v[140:141]
	v_add_f64 v[67:68], v[69:70], v[67:68]
	v_mul_f64 v[146:147], v[57:58], s[42:43]
	v_add_f64 v[22:23], v[24:25], v[22:23]
	v_mul_f64 v[152:153], v[57:58], s[36:37]
	v_add_f64 v[55:56], v[126:127], v[55:56]
	v_add_f64 v[69:70], v[128:129], v[77:78]
	v_add_f64 v[77:78], v[182:183], v[79:80]
	v_mul_f64 v[154:155], v[57:58], s[38:39]
	v_fma_f64 v[63:64], v[34:35], s[26:27], v[136:137]
	v_fma_f64 v[112:113], v[34:35], s[28:29], v[142:143]
	;; [unrolled: 1-line block ×3, first 2 shown]
	v_add_f64 v[75:76], v[75:76], v[110:111]
	v_add_f64 v[32:33], v[130:131], v[32:33]
	v_fma_f64 v[122:123], v[34:35], s[22:23], v[59:60]
	v_fma_f64 v[59:60], v[34:35], s[20:21], v[59:60]
	v_add_f64 v[40:41], v[108:109], v[40:41]
	v_add_f64 v[28:29], v[28:29], v[61:62]
	v_fma_f64 v[24:25], v[34:35], s[10:11], v[138:139]
	v_fma_f64 v[114:115], v[34:35], s[30:31], v[142:143]
	;; [unrolled: 1-line block ×3, first 2 shown]
	v_add_f64 v[46:47], v[116:117], v[46:47]
	v_add_f64 v[79:80], v[132:133], v[104:105]
	v_fma_f64 v[106:107], v[34:35], s[14:15], v[140:141]
	v_add_f64 v[26:27], v[26:27], v[102:103]
	v_add_f64 v[20:21], v[22:23], v[20:21]
	v_mul_f64 v[22:23], v[57:58], s[18:19]
	v_fma_f64 v[34:35], v[34:35], s[24:25], v[136:137]
	v_add_f64 v[0:1], v[42:43], v[0:1]
	v_fma_f64 v[61:62], v[44:45], s[4:5], v[148:149]
	v_fma_f64 v[42:43], v[44:45], s[26:27], v[150:151]
	v_add_f64 v[55:56], v[134:135], v[55:56]
	v_add_f64 v[65:66], v[65:66], v[77:78]
	v_fma_f64 v[57:58], v[44:45], s[30:31], v[146:147]
	v_fma_f64 v[104:105], v[44:45], s[14:15], v[152:153]
	v_fma_f64 v[110:111], v[44:45], s[22:23], v[154:155]
	v_add_f64 v[63:64], v[63:64], v[67:68]
	v_add_f64 v[67:68], v[112:113], v[75:76]
	;; [unrolled: 1-line block ×5, first 2 shown]
	v_fma_f64 v[108:109], v[44:45], s[6:7], v[152:153]
	v_add_f64 v[24:25], v[24:25], v[69:70]
	v_add_f64 v[46:47], v[114:115], v[46:47]
	;; [unrolled: 1-line block ×3, first 2 shown]
	v_fma_f64 v[59:60], v[44:45], s[20:21], v[154:155]
	v_fma_f64 v[102:103], v[44:45], s[0:1], v[148:149]
	v_add_f64 v[16:17], v[20:21], v[16:17]
	v_fma_f64 v[20:21], v[44:45], s[16:17], v[22:23]
	v_fma_f64 v[22:23], v[44:45], s[10:11], v[22:23]
	v_add_f64 v[26:27], v[106:107], v[26:27]
	;; [unrolled: 3-line block ×3, first 2 shown]
	v_add_f64 v[55:56], v[61:62], v[55:56]
	v_add_f64 v[42:43], v[42:43], v[65:66]
	v_mov_b32_e32 v51, 0x4e0
	v_add_f64 v[34:35], v[57:58], v[63:64]
	v_add_f64 v[57:58], v[104:105], v[67:68]
	;; [unrolled: 1-line block ×10, first 2 shown]
	v_mov_b32_e32 v16, 3
	v_add_f64 v[0:1], v[44:45], v[0:1]
	v_mul_u32_u24_sdwa v17, v96, v51 dst_sel:DWORD dst_unused:UNUSED_PAD src0_sel:WORD_0 src1_sel:DWORD
	v_lshlrev_b32_sdwa v16, v16, v97 dst_sel:DWORD dst_unused:UNUSED_PAD src0_sel:DWORD src1_sel:BYTE_0
	v_add3_u32 v16, 0, v17, v16
	ds_write2_b64 v16, v[55:56], v[42:43] offset0:24 offset1:36
	ds_write2_b64 v16, v[57:58], v[32:33] offset0:48 offset1:60
	;; [unrolled: 1-line block ×5, first 2 shown]
	ds_write2_b64 v16, v[14:15], v[34:35] offset1:12
	ds_write_b64 v16, v[0:1] offset:1152
.LBB0_21:
	s_or_b32 exec_lo, exec_lo, s33
	v_mov_b32_e32 v51, 0
	v_subrev_nc_u32_e32 v14, 39, v83
	v_lshrrev_b16 v15, 2, v91
	v_mov_b32_e32 v16, 0xd21
	s_waitcnt lgkmcnt(0)
	v_lshlrev_b64 v[0:1], 4, v[50:51]
	s_barrier
	buffer_gl0_inv
	s_mov_b32 s4, 0xe8584caa
	s_mov_b32 s5, 0xbfebb67a
	s_mov_b32 s1, 0x3febb67a
	v_add_co_u32 v24, s0, s8, v0
	v_add_co_ci_u32_e64 v25, s0, s9, v1, s0
	v_cmp_gt_u32_e64 s0, 39, v83
	v_cndmask_b32_e64 v92, v14, v92, s0
	v_mul_u32_u24_sdwa v14, v15, v16 dst_sel:DWORD dst_unused:UNUSED_PAD src0_sel:WORD_0 src1_sel:DWORD
	v_lshrrev_b16 v15, 2, v90
	v_add_co_u32 v0, s0, 0x800, v24
	v_add_co_ci_u32_e64 v1, s0, 0, v25, s0
	v_add_co_u32 v20, s0, 0x9a0, v24
	v_lshlrev_b32_e32 v50, 1, v92
	v_mul_u32_u24_sdwa v28, v15, v16 dst_sel:DWORD dst_unused:UNUSED_PAD src0_sel:WORD_0 src1_sel:DWORD
	v_add_co_ci_u32_e64 v21, s0, 0, v25, s0
	v_lshrrev_b32_e32 v122, 17, v14
	v_lshlrev_b64 v[26:27], 4, v[50:51]
	s_clause 0x1
	global_load_dwordx4 v[14:17], v[0:1], off offset:416
	global_load_dwordx4 v[20:23], v[20:21], off offset:16
	v_lshrrev_b32_e32 v1, 17, v28
	v_mov_b32_e32 v28, 5
	v_mul_lo_u16 v0, 0x9c, v122
	v_add_co_u32 v26, s0, s8, v26
	v_mul_lo_u16 v29, 0x9c, v1
	v_sub_nc_u16 v50, v91, v0
	v_add_co_ci_u32_e64 v27, s0, s9, v27, s0
	v_add_co_u32 v0, s0, 0x9a0, v26
	v_sub_nc_u16 v29, v90, v29
	v_lshlrev_b32_sdwa v28, v28, v50 dst_sel:DWORD dst_unused:UNUSED_PAD src0_sel:DWORD src1_sel:WORD_0
	v_add_co_ci_u32_e64 v1, s0, 0, v27, s0
	v_add_co_u32 v26, s0, 0x800, v26
	v_and_b32_e32 v123, 0xffff, v29
	v_add_co_ci_u32_e64 v27, s0, 0, v27, s0
	v_add_co_u32 v28, s0, s8, v28
	v_add_co_ci_u32_e64 v29, null, s9, 0, s0
	v_lshlrev_b32_e32 v32, 5, v123
	v_add_co_u32 v44, s0, 0x9a0, v28
	v_add_co_ci_u32_e64 v45, s0, 0, v29, s0
	v_add_co_u32 v32, s0, s8, v32
	v_add_co_ci_u32_e64 v33, null, s9, 0, s0
	v_add_co_u32 v40, s0, 0x800, v28
	v_add_co_ci_u32_e64 v41, s0, 0, v29, s0
	v_add_co_u32 v59, s0, 0x9a0, v32
	v_add_co_ci_u32_e64 v60, s0, 0, v33, s0
	v_add_co_u32 v55, s0, 0x800, v32
	v_add_co_ci_u32_e64 v56, s0, 0, v33, s0
	s_clause 0x5
	global_load_dwordx4 v[26:29], v[26:27], off offset:416
	global_load_dwordx4 v[32:35], v[0:1], off offset:16
	;; [unrolled: 1-line block ×6, first 2 shown]
	ds_read_b64 v[0:1], v95
	ds_read2_b64 v[63:66], v99 offset0:51 offset1:168
	ds_read2_b64 v[67:70], v100 offset0:73 offset1:190
	;; [unrolled: 1-line block ×3, first 2 shown]
	ds_read_b64 v[79:80], v94
	ds_read_b64 v[90:91], v89 offset:10296
	v_cmp_lt_u32_e64 s0, 38, v83
	ds_read_b64 v[116:117], v89
	ds_read_b64 v[118:119], v93
	;; [unrolled: 1-line block ×3, first 2 shown]
	s_waitcnt vmcnt(0) lgkmcnt(0)
	s_barrier
	buffer_gl0_inv
	v_mul_f64 v[96:97], v[0:1], v[16:17]
	v_mul_f64 v[102:103], v[65:66], v[22:23]
	;; [unrolled: 1-line block ×4, first 2 shown]
	v_fma_f64 v[73:74], v[73:74], v[14:15], v[96:97]
	v_fma_f64 v[4:5], v[4:5], v[20:21], v[102:103]
	v_fma_f64 v[0:1], v[0:1], v[14:15], -v[16:17]
	v_fma_f64 v[14:15], v[65:66], v[20:21], -v[22:23]
	v_mov_b32_e32 v65, 3
	v_cndmask_b32_e64 v96, 0, 0xea0, s0
	s_mov_b32 s0, s4
	v_lshlrev_b32_sdwa v50, v65, v50 dst_sel:DWORD dst_unused:UNUSED_PAD src0_sel:DWORD src1_sel:WORD_0
	v_mul_f64 v[104:105], v[67:68], v[28:29]
	v_mul_f64 v[106:107], v[75:76], v[34:35]
	;; [unrolled: 1-line block ×12, first 2 shown]
	v_fma_f64 v[6:7], v[6:7], v[26:27], v[104:105]
	v_fma_f64 v[10:11], v[10:11], v[32:33], v[106:107]
	;; [unrolled: 1-line block ×6, first 2 shown]
	v_fma_f64 v[16:17], v[67:68], v[26:27], -v[28:29]
	v_fma_f64 v[20:21], v[75:76], v[32:33], -v[34:35]
	;; [unrolled: 1-line block ×4, first 2 shown]
	v_add_f64 v[28:29], v[73:74], v[4:5]
	v_fma_f64 v[32:33], v[63:64], v[55:56], -v[57:58]
	v_fma_f64 v[34:35], v[90:91], v[59:60], -v[61:62]
	v_lshlrev_b32_e32 v46, 3, v92
	v_mul_u32_u24_e32 v47, 0xea0, v122
	v_add_f64 v[55:56], v[0:1], v[14:15]
	v_add_f64 v[57:58], v[0:1], -v[14:15]
	v_add_f64 v[0:1], v[116:117], v[0:1]
	v_add3_u32 v76, 0, v96, v46
	v_add3_u32 v50, 0, v47, v50
	v_add_f64 v[46:47], v[18:19], v[73:74]
	v_lshl_add_u32 v75, v123, 3, 0
	v_add_f64 v[61:62], v[30:31], v[6:7]
	v_add_f64 v[40:41], v[6:7], v[10:11]
	;; [unrolled: 1-line block ×6, first 2 shown]
	v_add_f64 v[6:7], v[6:7], -v[10:11]
	v_add_f64 v[59:60], v[16:17], v[20:21]
	v_add_f64 v[8:9], v[8:9], -v[12:13]
	v_add_f64 v[63:64], v[22:23], v[26:27]
	v_fma_f64 v[18:19], v[28:29], -0.5, v[18:19]
	v_add_f64 v[28:29], v[16:17], -v[20:21]
	v_add_f64 v[67:68], v[32:33], v[34:35]
	v_add_f64 v[16:17], v[79:80], v[16:17]
	v_add_f64 v[2:3], v[2:3], -v[71:72]
	v_add_nc_u32_e32 v77, 0x1c00, v75
	v_add_f64 v[10:11], v[61:62], v[10:11]
	v_fma_f64 v[30:31], v[40:41], -0.5, v[30:31]
	v_add_f64 v[40:41], v[22:23], -v[26:27]
	v_fma_f64 v[38:39], v[42:43], -0.5, v[38:39]
	v_add_f64 v[42:43], v[32:33], -v[34:35]
	;; [unrolled: 2-line block ×3, first 2 shown]
	v_add_f64 v[22:23], v[118:119], v[22:23]
	v_add_f64 v[4:5], v[46:47], v[4:5]
	v_fma_f64 v[46:47], v[55:56], -0.5, v[116:117]
	v_add_f64 v[32:33], v[120:121], v[32:33]
	v_fma_f64 v[55:56], v[59:60], -0.5, v[79:80]
	v_fma_f64 v[59:60], v[63:64], -0.5, v[118:119]
	v_add_f64 v[12:13], v[65:66], v[12:13]
	v_fma_f64 v[61:62], v[57:58], s[4:5], v[18:19]
	v_fma_f64 v[18:19], v[57:58], s[0:1], v[18:19]
	v_fma_f64 v[57:58], v[67:68], -0.5, v[120:121]
	v_add_f64 v[63:64], v[69:70], v[71:72]
	v_add_f64 v[67:68], v[16:17], v[20:21]
	ds_write2_b64 v89, v[4:5], v[61:62] offset1:156
	ds_write_b64 v89, v[18:19] offset:2496
	v_fma_f64 v[65:66], v[28:29], s[4:5], v[30:31]
	v_fma_f64 v[28:29], v[28:29], s[0:1], v[30:31]
	;; [unrolled: 1-line block ×6, first 2 shown]
	v_add_f64 v[42:43], v[0:1], v[14:15]
	v_add_f64 v[26:27], v[22:23], v[26:27]
	v_fma_f64 v[69:70], v[44:45], s[0:1], v[46:47]
	v_fma_f64 v[44:45], v[44:45], s[4:5], v[46:47]
	v_add_f64 v[32:33], v[32:33], v[34:35]
	v_fma_f64 v[34:35], v[6:7], s[0:1], v[55:56]
	v_fma_f64 v[46:47], v[6:7], s[4:5], v[55:56]
	;; [unrolled: 1-line block ×6, first 2 shown]
	ds_write2_b64 v76, v[10:11], v[65:66] offset1:156
	ds_write_b64 v76, v[28:29] offset:2496
	ds_write2_b64 v50, v[12:13], v[30:31] offset1:156
	ds_write_b64 v50, v[38:39] offset:2496
	ds_write2_b64 v77, v[63:64], v[40:41] offset0:40 offset1:196
	ds_write_b64 v75, v[36:37] offset:9984
	s_waitcnt lgkmcnt(0)
	s_barrier
	buffer_gl0_inv
	ds_read_b64 v[16:17], v89
	ds_read2_b64 v[8:11], v99 offset0:51 offset1:168
	ds_read_b64 v[14:15], v94
	ds_read2_b64 v[0:3], v100 offset0:73 offset1:190
	ds_read2_b64 v[4:7], v101 offset0:29 offset1:146
	ds_read_b64 v[12:13], v93
	ds_read_b64 v[18:19], v98
	;; [unrolled: 1-line block ×3, first 2 shown]
	ds_read_b64 v[20:21], v89 offset:10296
	s_waitcnt lgkmcnt(0)
	s_barrier
	buffer_gl0_inv
	ds_write2_b64 v89, v[42:43], v[69:70] offset1:156
	ds_write_b64 v89, v[44:45] offset:2496
	ds_write2_b64 v76, v[67:68], v[34:35] offset1:156
	ds_write_b64 v76, v[46:47] offset:2496
	;; [unrolled: 2-line block ×3, first 2 shown]
	ds_write2_b64 v77, v[32:33], v[61:62] offset0:40 offset1:196
	ds_write_b64 v75, v[57:58] offset:9984
	s_waitcnt lgkmcnt(0)
	s_barrier
	buffer_gl0_inv
	s_and_saveexec_b32 s6, vcc_lo
	s_cbranch_execz .LBB0_23
; %bb.22:
	v_mov_b32_e32 v55, v51
	v_add_nc_u32_e32 v62, 0x1000, v89
	v_add_nc_u32_e32 v66, 0x2000, v89
	v_lshrrev_b32_e32 v80, 2, v81
	v_mad_u64_u32 v[91:92], null, s2, v86, 0
	v_lshlrev_b64 v[26:27], 4, v[54:55]
	v_mov_b32_e32 v54, v51
	v_lshrrev_b32_e32 v101, 2, v82
	v_mad_u64_u32 v[99:100], null, s2, v87, 0
	v_mul_hi_u32 v104, 0x46046047, v80
	v_add_co_u32 v28, vcc_lo, s8, v26
	v_add_co_ci_u32_e32 v29, vcc_lo, s9, v27, vcc_lo
	v_lshlrev_b64 v[26:27], 4, v[53:54]
	v_add_co_u32 v30, vcc_lo, 0x1d20, v28
	v_add_co_ci_u32_e32 v31, vcc_lo, 0, v29, vcc_lo
	v_add_co_u32 v28, vcc_lo, 0x1800, v28
	v_add_co_ci_u32_e32 v29, vcc_lo, 0, v29, vcc_lo
	;; [unrolled: 2-line block ×3, first 2 shown]
	v_mov_b32_e32 v53, v51
	v_add_co_u32 v46, vcc_lo, 0x1d20, v34
	v_add_co_ci_u32_e32 v47, vcc_lo, 0, v35, vcc_lo
	v_add_co_u32 v42, vcc_lo, 0x1800, v34
	v_add_co_ci_u32_e32 v43, vcc_lo, 0, v35, vcc_lo
	v_lshlrev_b64 v[34:35], 4, v[52:53]
	v_add_co_u32 v38, vcc_lo, 0x1d20, v24
	v_add_co_ci_u32_e32 v39, vcc_lo, 0, v25, vcc_lo
	v_add_co_u32 v24, vcc_lo, 0x1800, v24
	v_add_co_ci_u32_e32 v25, vcc_lo, 0, v25, vcc_lo
	;; [unrolled: 2-line block ×3, first 2 shown]
	s_clause 0x3
	global_load_dwordx4 v[26:29], v[28:29], off offset:1312
	global_load_dwordx4 v[30:33], v[30:31], off offset:16
	global_load_dwordx4 v[34:37], v[24:25], off offset:1312
	global_load_dwordx4 v[38:41], v[38:39], off offset:16
	v_add_co_u32 v24, vcc_lo, 0x1800, v44
	v_add_co_ci_u32_e32 v25, vcc_lo, 0, v45, vcc_lo
	v_add_co_u32 v58, vcc_lo, 0x1d20, v44
	v_add_co_ci_u32_e32 v59, vcc_lo, 0, v45, vcc_lo
	s_clause 0x3
	global_load_dwordx4 v[42:45], v[42:43], off offset:1312
	global_load_dwordx4 v[50:53], v[46:47], off offset:16
	;; [unrolled: 1-line block ×4, first 2 shown]
	v_add_nc_u32_e32 v46, 0x1800, v89
	ds_read_b64 v[24:25], v98
	ds_read_b64 v[70:71], v93
	;; [unrolled: 1-line block ×4, first 2 shown]
	ds_read_b64 v[76:77], v89 offset:10296
	ds_read_b64 v[78:79], v89
	v_mad_u64_u32 v[89:90], null, s2, v83, 0
	v_mad_u64_u32 v[93:94], null, s2, v88, 0
	;; [unrolled: 1-line block ×4, first 2 shown]
	v_mul_hi_u32 v105, 0x46046047, v101
	v_mov_b32_e32 v80, v90
	v_mov_b32_e32 v90, v92
	;; [unrolled: 1-line block ×4, first 2 shown]
	v_add_co_u32 v124, vcc_lo, s12, v48
	v_mov_b32_e32 v96, v98
	v_mov_b32_e32 v98, v100
	v_mad_u64_u32 v[100:101], null, s3, v83, v[80:81]
	v_lshrrev_b32_e32 v80, 5, v104
	v_mad_u64_u32 v[101:102], null, s3, v86, v[90:91]
	v_mad_u64_u32 v[83:84], null, s3, v84, v[94:95]
	;; [unrolled: 1-line block ×3, first 2 shown]
	v_lshrrev_b32_e32 v88, 5, v105
	v_mad_u64_u32 v[84:85], null, s3, v85, v[96:97]
	v_mad_u64_u32 v[85:86], null, s3, v87, v[98:99]
	v_mad_u32_u24 v104, 0x3a8, v80, v81
	v_mad_u32_u24 v106, 0x3a8, v88, v82
	v_mov_b32_e32 v90, v100
	v_mov_b32_e32 v92, v101
	;; [unrolled: 1-line block ×5, first 2 shown]
	v_add_nc_u32_e32 v107, 0x1d4, v104
	v_mov_b32_e32 v100, v85
	v_add_nc_u32_e32 v108, 0x3a8, v104
	v_add_nc_u32_e32 v109, 0x1d4, v106
	;; [unrolled: 1-line block ×3, first 2 shown]
	v_lshlrev_b64 v[84:85], 4, v[89:90]
	v_add_co_ci_u32_e32 v125, vcc_lo, s13, v49, vcc_lo
	ds_read2_b64 v[46:49], v46 offset0:51 offset1:168
	ds_read2_b64 v[62:65], v62 offset0:73 offset1:190
	;; [unrolled: 1-line block ×3, first 2 shown]
	v_mad_u64_u32 v[80:81], null, s2, v104, 0
	v_mad_u64_u32 v[82:83], null, s2, v106, 0
	v_lshlrev_b64 v[86:87], 4, v[91:92]
	v_lshlrev_b64 v[88:89], 4, v[93:94]
	;; [unrolled: 1-line block ×4, first 2 shown]
	v_mad_u64_u32 v[96:97], null, s2, v107, 0
	v_lshlrev_b64 v[94:95], 4, v[99:100]
	v_mad_u64_u32 v[98:99], null, s2, v108, 0
	v_mad_u64_u32 v[100:101], null, s2, v109, 0
	;; [unrolled: 1-line block ×3, first 2 shown]
	v_add_co_u32 v84, vcc_lo, v124, v84
	v_mad_u64_u32 v[104:105], null, s3, v104, v[81:82]
	v_mov_b32_e32 v81, v97
	v_mov_b32_e32 v97, v99
	v_mad_u64_u32 v[105:106], null, s3, v106, v[83:84]
	v_mov_b32_e32 v83, v101
	v_mov_b32_e32 v99, v103
	v_mad_u64_u32 v[106:107], null, s3, v107, v[81:82]
	v_mad_u64_u32 v[107:108], null, s3, v108, v[97:98]
	;; [unrolled: 1-line block ×4, first 2 shown]
	v_mov_b32_e32 v81, v104
	v_mov_b32_e32 v83, v105
	v_add_co_ci_u32_e32 v85, vcc_lo, v125, v85, vcc_lo
	v_add_co_u32 v86, vcc_lo, v124, v86
	v_add_co_ci_u32_e32 v87, vcc_lo, v125, v87, vcc_lo
	v_add_co_u32 v88, vcc_lo, v124, v88
	;; [unrolled: 2-line block ×4, first 2 shown]
	v_lshlrev_b64 v[80:81], 4, v[80:81]
	v_add_co_ci_u32_e32 v93, vcc_lo, v125, v93, vcc_lo
	v_add_co_u32 v94, vcc_lo, v124, v94
	v_lshlrev_b64 v[82:83], 4, v[82:83]
	v_add_co_ci_u32_e32 v95, vcc_lo, v125, v95, vcc_lo
	v_mov_b32_e32 v101, v108
	v_mov_b32_e32 v103, v109
	;; [unrolled: 1-line block ×4, first 2 shown]
	s_waitcnt vmcnt(7)
	v_mul_f64 v[112:113], v[8:9], v[28:29]
	s_waitcnt vmcnt(5)
	v_mul_f64 v[104:105], v[22:23], v[36:37]
	;; [unrolled: 2-line block ×3, first 2 shown]
	s_waitcnt lgkmcnt(5)
	v_mul_f64 v[36:37], v[74:75], v[36:37]
	s_waitcnt lgkmcnt(2)
	v_mul_f64 v[40:41], v[48:49], v[40:41]
	v_mul_f64 v[114:115], v[20:21], v[32:33]
	;; [unrolled: 1-line block ×4, first 2 shown]
	s_waitcnt vmcnt(3)
	v_mul_f64 v[116:117], v[2:3], v[44:45]
	s_waitcnt vmcnt(2)
	v_mul_f64 v[118:119], v[6:7], v[52:53]
	;; [unrolled: 2-line block ×4, first 2 shown]
	s_waitcnt lgkmcnt(1)
	v_mul_f64 v[56:57], v[62:63], v[56:57]
	s_waitcnt lgkmcnt(0)
	v_mul_f64 v[60:61], v[66:67], v[60:61]
	v_mul_f64 v[44:45], v[64:65], v[44:45]
	;; [unrolled: 1-line block ×3, first 2 shown]
	v_fma_f64 v[74:75], v[74:75], v[34:35], -v[104:105]
	v_fma_f64 v[48:49], v[48:49], v[38:39], -v[110:111]
	v_fma_f64 v[22:23], v[22:23], v[34:35], v[36:37]
	v_fma_f64 v[10:11], v[10:11], v[38:39], v[40:41]
	v_fma_f64 v[34:35], v[46:47], v[26:27], -v[112:113]
	v_fma_f64 v[36:37], v[76:77], v[30:31], -v[114:115]
	v_fma_f64 v[8:9], v[8:9], v[26:27], v[28:29]
	v_fma_f64 v[20:21], v[20:21], v[30:31], v[32:33]
	v_fma_f64 v[26:27], v[64:65], v[42:43], -v[116:117]
	v_fma_f64 v[28:29], v[68:69], v[50:51], -v[118:119]
	;; [unrolled: 1-line block ×4, first 2 shown]
	v_fma_f64 v[0:1], v[0:1], v[54:55], v[56:57]
	v_fma_f64 v[38:39], v[4:5], v[58:59], v[60:61]
	;; [unrolled: 1-line block ×4, first 2 shown]
	v_add_co_u32 v50, vcc_lo, v124, v80
	v_add_co_ci_u32_e32 v51, vcc_lo, v125, v81, vcc_lo
	v_add_co_u32 v52, vcc_lo, v124, v82
	v_add_co_ci_u32_e32 v53, vcc_lo, v125, v83, vcc_lo
	v_add_f64 v[6:7], v[74:75], v[48:49]
	v_add_f64 v[44:45], v[22:23], v[10:11]
	v_add_f64 v[42:43], v[22:23], -v[10:11]
	v_add_f64 v[46:47], v[34:35], v[36:37]
	v_add_f64 v[68:69], v[78:79], v[74:75]
	v_add_f64 v[60:61], v[8:9], v[20:21]
	v_add_f64 v[22:23], v[16:17], v[22:23]
	v_add_f64 v[62:63], v[26:27], v[28:29]
	v_add_f64 v[74:75], v[74:75], -v[48:49]
	v_add_f64 v[64:65], v[30:31], v[32:33]
	v_add_f64 v[76:77], v[8:9], -v[20:21]
	v_add_f64 v[66:67], v[0:1], v[38:39]
	v_add_f64 v[8:9], v[18:19], v[8:9]
	;; [unrolled: 1-line block ×4, first 2 shown]
	v_add_f64 v[108:109], v[30:31], -v[32:33]
	v_add_f64 v[106:107], v[14:15], v[0:1]
	v_lshlrev_b64 v[56:57], 4, v[100:101]
	v_lshlrev_b64 v[58:59], 4, v[102:103]
	v_add_f64 v[80:81], v[24:25], v[34:35]
	v_add_f64 v[100:101], v[12:13], v[2:3]
	v_add_f64 v[102:103], v[0:1], -v[38:39]
	v_fma_f64 v[78:79], v[6:7], -0.5, v[78:79]
	v_fma_f64 v[30:31], v[44:45], -0.5, v[16:17]
	v_lshlrev_b64 v[4:5], 4, v[96:97]
	v_fma_f64 v[24:25], v[46:47], -0.5, v[24:25]
	v_add_f64 v[96:97], v[34:35], -v[36:37]
	v_add_f64 v[34:35], v[70:71], v[26:27]
	v_lshlrev_b64 v[54:55], 4, v[98:99]
	v_fma_f64 v[44:45], v[62:63], -0.5, v[70:71]
	v_add_f64 v[98:99], v[2:3], -v[40:41]
	v_fma_f64 v[46:47], v[64:65], -0.5, v[72:73]
	v_fma_f64 v[60:61], v[60:61], -0.5, v[18:19]
	;; [unrolled: 1-line block ×3, first 2 shown]
	v_add_f64 v[66:67], v[26:27], -v[28:29]
	v_fma_f64 v[70:71], v[82:83], -0.5, v[12:13]
	v_add_co_u32 v64, vcc_lo, v124, v4
	v_add_f64 v[2:3], v[68:69], v[48:49]
	v_add_f64 v[0:1], v[22:23], v[10:11]
	v_add_co_ci_u32_e32 v65, vcc_lo, v125, v5, vcc_lo
	v_add_f64 v[4:5], v[8:9], v[20:21]
	v_add_f64 v[14:15], v[104:105], v[32:33]
	v_fma_f64 v[22:23], v[42:43], s[0:1], v[78:79]
	v_fma_f64 v[20:21], v[74:75], s[4:5], v[30:31]
	;; [unrolled: 1-line block ×4, first 2 shown]
	v_add_f64 v[12:13], v[106:107], v[38:39]
	v_add_f64 v[8:9], v[100:101], v[40:41]
	;; [unrolled: 1-line block ×4, first 2 shown]
	v_fma_f64 v[34:35], v[98:99], s[4:5], v[44:45]
	v_fma_f64 v[42:43], v[102:103], s[0:1], v[46:47]
	;; [unrolled: 1-line block ×12, first 2 shown]
	v_add_co_u32 v48, vcc_lo, v124, v54
	v_add_co_ci_u32_e32 v49, vcc_lo, v125, v55, vcc_lo
	v_add_co_u32 v54, vcc_lo, v124, v56
	v_add_co_ci_u32_e32 v55, vcc_lo, v125, v57, vcc_lo
	;; [unrolled: 2-line block ×3, first 2 shown]
	global_store_dwordx4 v[84:85], v[0:3], off
	global_store_dwordx4 v[86:87], v[20:23], off
	;; [unrolled: 1-line block ×12, first 2 shown]
.LBB0_23:
	s_endpgm
	.section	.rodata,"a",@progbits
	.p2align	6, 0x0
	.amdhsa_kernel fft_rtc_back_len1404_factors_2_2_3_13_3_3_wgs_117_tpt_117_halfLds_dp_ip_CI_sbrr_dirReg
		.amdhsa_group_segment_fixed_size 0
		.amdhsa_private_segment_fixed_size 0
		.amdhsa_kernarg_size 88
		.amdhsa_user_sgpr_count 6
		.amdhsa_user_sgpr_private_segment_buffer 1
		.amdhsa_user_sgpr_dispatch_ptr 0
		.amdhsa_user_sgpr_queue_ptr 0
		.amdhsa_user_sgpr_kernarg_segment_ptr 1
		.amdhsa_user_sgpr_dispatch_id 0
		.amdhsa_user_sgpr_flat_scratch_init 0
		.amdhsa_user_sgpr_private_segment_size 0
		.amdhsa_wavefront_size32 1
		.amdhsa_uses_dynamic_stack 0
		.amdhsa_system_sgpr_private_segment_wavefront_offset 0
		.amdhsa_system_sgpr_workgroup_id_x 1
		.amdhsa_system_sgpr_workgroup_id_y 0
		.amdhsa_system_sgpr_workgroup_id_z 0
		.amdhsa_system_sgpr_workgroup_info 0
		.amdhsa_system_vgpr_workitem_id 0
		.amdhsa_next_free_vgpr 184
		.amdhsa_next_free_sgpr 44
		.amdhsa_reserve_vcc 1
		.amdhsa_reserve_flat_scratch 0
		.amdhsa_float_round_mode_32 0
		.amdhsa_float_round_mode_16_64 0
		.amdhsa_float_denorm_mode_32 3
		.amdhsa_float_denorm_mode_16_64 3
		.amdhsa_dx10_clamp 1
		.amdhsa_ieee_mode 1
		.amdhsa_fp16_overflow 0
		.amdhsa_workgroup_processor_mode 1
		.amdhsa_memory_ordered 1
		.amdhsa_forward_progress 0
		.amdhsa_shared_vgpr_count 0
		.amdhsa_exception_fp_ieee_invalid_op 0
		.amdhsa_exception_fp_denorm_src 0
		.amdhsa_exception_fp_ieee_div_zero 0
		.amdhsa_exception_fp_ieee_overflow 0
		.amdhsa_exception_fp_ieee_underflow 0
		.amdhsa_exception_fp_ieee_inexact 0
		.amdhsa_exception_int_div_zero 0
	.end_amdhsa_kernel
	.text
.Lfunc_end0:
	.size	fft_rtc_back_len1404_factors_2_2_3_13_3_3_wgs_117_tpt_117_halfLds_dp_ip_CI_sbrr_dirReg, .Lfunc_end0-fft_rtc_back_len1404_factors_2_2_3_13_3_3_wgs_117_tpt_117_halfLds_dp_ip_CI_sbrr_dirReg
                                        ; -- End function
	.section	.AMDGPU.csdata,"",@progbits
; Kernel info:
; codeLenInByte = 13136
; NumSgprs: 46
; NumVgprs: 184
; ScratchSize: 0
; MemoryBound: 1
; FloatMode: 240
; IeeeMode: 1
; LDSByteSize: 0 bytes/workgroup (compile time only)
; SGPRBlocks: 5
; VGPRBlocks: 22
; NumSGPRsForWavesPerEU: 46
; NumVGPRsForWavesPerEU: 184
; Occupancy: 5
; WaveLimiterHint : 1
; COMPUTE_PGM_RSRC2:SCRATCH_EN: 0
; COMPUTE_PGM_RSRC2:USER_SGPR: 6
; COMPUTE_PGM_RSRC2:TRAP_HANDLER: 0
; COMPUTE_PGM_RSRC2:TGID_X_EN: 1
; COMPUTE_PGM_RSRC2:TGID_Y_EN: 0
; COMPUTE_PGM_RSRC2:TGID_Z_EN: 0
; COMPUTE_PGM_RSRC2:TIDIG_COMP_CNT: 0
	.text
	.p2alignl 6, 3214868480
	.fill 48, 4, 3214868480
	.type	__hip_cuid_82118e57b05693f2,@object ; @__hip_cuid_82118e57b05693f2
	.section	.bss,"aw",@nobits
	.globl	__hip_cuid_82118e57b05693f2
__hip_cuid_82118e57b05693f2:
	.byte	0                               ; 0x0
	.size	__hip_cuid_82118e57b05693f2, 1

	.ident	"AMD clang version 19.0.0git (https://github.com/RadeonOpenCompute/llvm-project roc-6.4.0 25133 c7fe45cf4b819c5991fe208aaa96edf142730f1d)"
	.section	".note.GNU-stack","",@progbits
	.addrsig
	.addrsig_sym __hip_cuid_82118e57b05693f2
	.amdgpu_metadata
---
amdhsa.kernels:
  - .args:
      - .actual_access:  read_only
        .address_space:  global
        .offset:         0
        .size:           8
        .value_kind:     global_buffer
      - .offset:         8
        .size:           8
        .value_kind:     by_value
      - .actual_access:  read_only
        .address_space:  global
        .offset:         16
        .size:           8
        .value_kind:     global_buffer
      - .actual_access:  read_only
        .address_space:  global
        .offset:         24
        .size:           8
        .value_kind:     global_buffer
      - .offset:         32
        .size:           8
        .value_kind:     by_value
      - .actual_access:  read_only
        .address_space:  global
        .offset:         40
        .size:           8
        .value_kind:     global_buffer
      - .actual_access:  read_only
        .address_space:  global
        .offset:         48
        .size:           8
        .value_kind:     global_buffer
      - .offset:         56
        .size:           4
        .value_kind:     by_value
      - .actual_access:  read_only
        .address_space:  global
        .offset:         64
        .size:           8
        .value_kind:     global_buffer
      - .actual_access:  read_only
        .address_space:  global
        .offset:         72
        .size:           8
        .value_kind:     global_buffer
      - .address_space:  global
        .offset:         80
        .size:           8
        .value_kind:     global_buffer
    .group_segment_fixed_size: 0
    .kernarg_segment_align: 8
    .kernarg_segment_size: 88
    .language:       OpenCL C
    .language_version:
      - 2
      - 0
    .max_flat_workgroup_size: 117
    .name:           fft_rtc_back_len1404_factors_2_2_3_13_3_3_wgs_117_tpt_117_halfLds_dp_ip_CI_sbrr_dirReg
    .private_segment_fixed_size: 0
    .sgpr_count:     46
    .sgpr_spill_count: 0
    .symbol:         fft_rtc_back_len1404_factors_2_2_3_13_3_3_wgs_117_tpt_117_halfLds_dp_ip_CI_sbrr_dirReg.kd
    .uniform_work_group_size: 1
    .uses_dynamic_stack: false
    .vgpr_count:     184
    .vgpr_spill_count: 0
    .wavefront_size: 32
    .workgroup_processor_mode: 1
amdhsa.target:   amdgcn-amd-amdhsa--gfx1030
amdhsa.version:
  - 1
  - 2
...

	.end_amdgpu_metadata
